;; amdgpu-corpus repo=ROCm/rocFFT kind=compiled arch=gfx1030 opt=O3
	.text
	.amdgcn_target "amdgcn-amd-amdhsa--gfx1030"
	.amdhsa_code_object_version 6
	.protected	fft_rtc_back_len150_factors_10_5_3_wgs_60_tpt_5_halfLds_half_ip_CI_unitstride_sbrr_C2R_dirReg ; -- Begin function fft_rtc_back_len150_factors_10_5_3_wgs_60_tpt_5_halfLds_half_ip_CI_unitstride_sbrr_C2R_dirReg
	.globl	fft_rtc_back_len150_factors_10_5_3_wgs_60_tpt_5_halfLds_half_ip_CI_unitstride_sbrr_C2R_dirReg
	.p2align	8
	.type	fft_rtc_back_len150_factors_10_5_3_wgs_60_tpt_5_halfLds_half_ip_CI_unitstride_sbrr_C2R_dirReg,@function
fft_rtc_back_len150_factors_10_5_3_wgs_60_tpt_5_halfLds_half_ip_CI_unitstride_sbrr_C2R_dirReg: ; @fft_rtc_back_len150_factors_10_5_3_wgs_60_tpt_5_halfLds_half_ip_CI_unitstride_sbrr_C2R_dirReg
; %bb.0:
	s_load_dwordx4 s[8:11], s[4:5], 0x0
	v_mul_u32_u24_e32 v1, 0x3334, v0
	s_clause 0x1
	s_load_dwordx2 s[2:3], s[4:5], 0x50
	s_load_dwordx2 s[12:13], s[4:5], 0x18
	v_mov_b32_e32 v5, 0
	v_mov_b32_e32 v3, 0
	;; [unrolled: 1-line block ×3, first 2 shown]
	v_lshrrev_b32_e32 v1, 16, v1
	v_mad_u64_u32 v[1:2], null, s6, 12, v[1:2]
	v_mov_b32_e32 v2, v5
	v_mov_b32_e32 v10, v2
	;; [unrolled: 1-line block ×3, first 2 shown]
	s_waitcnt lgkmcnt(0)
	v_cmp_lt_u64_e64 s0, s[10:11], 2
	s_and_b32 vcc_lo, exec_lo, s0
	s_cbranch_vccnz .LBB0_8
; %bb.1:
	s_load_dwordx2 s[0:1], s[4:5], 0x10
	v_mov_b32_e32 v3, 0
	v_mov_b32_e32 v8, v2
	s_add_u32 s6, s12, 8
	v_mov_b32_e32 v4, 0
	v_mov_b32_e32 v7, v1
	s_addc_u32 s7, s13, 0
	s_mov_b64 s[16:17], 1
	s_waitcnt lgkmcnt(0)
	s_add_u32 s14, s0, 8
	s_addc_u32 s15, s1, 0
.LBB0_2:                                ; =>This Inner Loop Header: Depth=1
	s_load_dwordx2 s[18:19], s[14:15], 0x0
                                        ; implicit-def: $vgpr9_vgpr10
	s_mov_b32 s0, exec_lo
	s_waitcnt lgkmcnt(0)
	v_or_b32_e32 v6, s19, v8
	v_cmpx_ne_u64_e32 0, v[5:6]
	s_xor_b32 s1, exec_lo, s0
	s_cbranch_execz .LBB0_4
; %bb.3:                                ;   in Loop: Header=BB0_2 Depth=1
	v_cvt_f32_u32_e32 v2, s18
	v_cvt_f32_u32_e32 v6, s19
	s_sub_u32 s0, 0, s18
	s_subb_u32 s20, 0, s19
	v_fmac_f32_e32 v2, 0x4f800000, v6
	v_rcp_f32_e32 v2, v2
	v_mul_f32_e32 v2, 0x5f7ffffc, v2
	v_mul_f32_e32 v6, 0x2f800000, v2
	v_trunc_f32_e32 v6, v6
	v_fmac_f32_e32 v2, 0xcf800000, v6
	v_cvt_u32_f32_e32 v6, v6
	v_cvt_u32_f32_e32 v2, v2
	v_mul_lo_u32 v9, s0, v6
	v_mul_hi_u32 v10, s0, v2
	v_mul_lo_u32 v11, s20, v2
	v_add_nc_u32_e32 v9, v10, v9
	v_mul_lo_u32 v10, s0, v2
	v_add_nc_u32_e32 v9, v9, v11
	v_mul_hi_u32 v11, v2, v10
	v_mul_lo_u32 v12, v2, v9
	v_mul_hi_u32 v13, v2, v9
	v_mul_hi_u32 v14, v6, v10
	v_mul_lo_u32 v10, v6, v10
	v_mul_hi_u32 v15, v6, v9
	v_mul_lo_u32 v9, v6, v9
	v_add_co_u32 v11, vcc_lo, v11, v12
	v_add_co_ci_u32_e32 v12, vcc_lo, 0, v13, vcc_lo
	v_add_co_u32 v10, vcc_lo, v11, v10
	v_add_co_ci_u32_e32 v10, vcc_lo, v12, v14, vcc_lo
	v_add_co_ci_u32_e32 v11, vcc_lo, 0, v15, vcc_lo
	v_add_co_u32 v9, vcc_lo, v10, v9
	v_add_co_ci_u32_e32 v10, vcc_lo, 0, v11, vcc_lo
	v_add_co_u32 v2, vcc_lo, v2, v9
	v_add_co_ci_u32_e32 v6, vcc_lo, v6, v10, vcc_lo
	v_mul_hi_u32 v9, s0, v2
	v_mul_lo_u32 v11, s20, v2
	v_mul_lo_u32 v10, s0, v6
	v_add_nc_u32_e32 v9, v9, v10
	v_mul_lo_u32 v10, s0, v2
	v_add_nc_u32_e32 v9, v9, v11
	v_mul_hi_u32 v11, v2, v10
	v_mul_lo_u32 v12, v2, v9
	v_mul_hi_u32 v13, v2, v9
	v_mul_hi_u32 v14, v6, v10
	v_mul_lo_u32 v10, v6, v10
	v_mul_hi_u32 v15, v6, v9
	v_mul_lo_u32 v9, v6, v9
	v_add_co_u32 v11, vcc_lo, v11, v12
	v_add_co_ci_u32_e32 v12, vcc_lo, 0, v13, vcc_lo
	v_add_co_u32 v10, vcc_lo, v11, v10
	v_add_co_ci_u32_e32 v10, vcc_lo, v12, v14, vcc_lo
	v_add_co_ci_u32_e32 v11, vcc_lo, 0, v15, vcc_lo
	v_add_co_u32 v9, vcc_lo, v10, v9
	v_add_co_ci_u32_e32 v10, vcc_lo, 0, v11, vcc_lo
	v_add_co_u32 v2, vcc_lo, v2, v9
	v_add_co_ci_u32_e32 v6, vcc_lo, v6, v10, vcc_lo
	v_mul_hi_u32 v15, v7, v2
	v_mad_u64_u32 v[11:12], null, v8, v2, 0
	v_mad_u64_u32 v[9:10], null, v7, v6, 0
	v_mad_u64_u32 v[13:14], null, v8, v6, 0
	v_add_co_u32 v2, vcc_lo, v15, v9
	v_add_co_ci_u32_e32 v6, vcc_lo, 0, v10, vcc_lo
	v_add_co_u32 v2, vcc_lo, v2, v11
	v_add_co_ci_u32_e32 v2, vcc_lo, v6, v12, vcc_lo
	v_add_co_ci_u32_e32 v6, vcc_lo, 0, v14, vcc_lo
	v_add_co_u32 v2, vcc_lo, v2, v13
	v_add_co_ci_u32_e32 v6, vcc_lo, 0, v6, vcc_lo
	v_mul_lo_u32 v11, s19, v2
	v_mad_u64_u32 v[9:10], null, s18, v2, 0
	v_mul_lo_u32 v12, s18, v6
	v_sub_co_u32 v9, vcc_lo, v7, v9
	v_add3_u32 v10, v10, v12, v11
	v_sub_nc_u32_e32 v11, v8, v10
	v_subrev_co_ci_u32_e64 v11, s0, s19, v11, vcc_lo
	v_add_co_u32 v12, s0, v2, 2
	v_add_co_ci_u32_e64 v13, s0, 0, v6, s0
	v_sub_co_u32 v14, s0, v9, s18
	v_sub_co_ci_u32_e32 v10, vcc_lo, v8, v10, vcc_lo
	v_subrev_co_ci_u32_e64 v11, s0, 0, v11, s0
	v_cmp_le_u32_e32 vcc_lo, s18, v14
	v_cmp_eq_u32_e64 s0, s19, v10
	v_cndmask_b32_e64 v14, 0, -1, vcc_lo
	v_cmp_le_u32_e32 vcc_lo, s19, v11
	v_cndmask_b32_e64 v15, 0, -1, vcc_lo
	v_cmp_le_u32_e32 vcc_lo, s18, v9
	;; [unrolled: 2-line block ×3, first 2 shown]
	v_cndmask_b32_e64 v16, 0, -1, vcc_lo
	v_cmp_eq_u32_e32 vcc_lo, s19, v11
	v_cndmask_b32_e64 v9, v16, v9, s0
	v_cndmask_b32_e32 v11, v15, v14, vcc_lo
	v_add_co_u32 v14, vcc_lo, v2, 1
	v_add_co_ci_u32_e32 v15, vcc_lo, 0, v6, vcc_lo
	v_cmp_ne_u32_e32 vcc_lo, 0, v11
	v_cndmask_b32_e32 v10, v15, v13, vcc_lo
	v_cndmask_b32_e32 v11, v14, v12, vcc_lo
	v_cmp_ne_u32_e32 vcc_lo, 0, v9
	v_cndmask_b32_e32 v10, v6, v10, vcc_lo
	v_cndmask_b32_e32 v9, v2, v11, vcc_lo
.LBB0_4:                                ;   in Loop: Header=BB0_2 Depth=1
	s_andn2_saveexec_b32 s0, s1
	s_cbranch_execz .LBB0_6
; %bb.5:                                ;   in Loop: Header=BB0_2 Depth=1
	v_cvt_f32_u32_e32 v2, s18
	s_sub_i32 s1, 0, s18
	v_rcp_iflag_f32_e32 v2, v2
	v_mul_f32_e32 v2, 0x4f7ffffe, v2
	v_cvt_u32_f32_e32 v2, v2
	v_mul_lo_u32 v6, s1, v2
	v_mul_hi_u32 v6, v2, v6
	v_add_nc_u32_e32 v2, v2, v6
	v_mul_hi_u32 v2, v7, v2
	v_mul_lo_u32 v6, v2, s18
	v_add_nc_u32_e32 v9, 1, v2
	v_sub_nc_u32_e32 v6, v7, v6
	v_subrev_nc_u32_e32 v10, s18, v6
	v_cmp_le_u32_e32 vcc_lo, s18, v6
	v_cndmask_b32_e32 v6, v6, v10, vcc_lo
	v_cndmask_b32_e32 v2, v2, v9, vcc_lo
	v_mov_b32_e32 v10, v5
	v_cmp_le_u32_e32 vcc_lo, s18, v6
	v_add_nc_u32_e32 v9, 1, v2
	v_cndmask_b32_e32 v9, v2, v9, vcc_lo
.LBB0_6:                                ;   in Loop: Header=BB0_2 Depth=1
	s_or_b32 exec_lo, exec_lo, s0
	s_load_dwordx2 s[0:1], s[6:7], 0x0
	v_mul_lo_u32 v2, v10, s18
	v_mul_lo_u32 v6, v9, s19
	v_mad_u64_u32 v[11:12], null, v9, s18, 0
	s_add_u32 s16, s16, 1
	s_addc_u32 s17, s17, 0
	s_add_u32 s6, s6, 8
	s_addc_u32 s7, s7, 0
	;; [unrolled: 2-line block ×3, first 2 shown]
	v_add3_u32 v2, v12, v6, v2
	v_sub_co_u32 v6, vcc_lo, v7, v11
	v_sub_co_ci_u32_e32 v2, vcc_lo, v8, v2, vcc_lo
	s_waitcnt lgkmcnt(0)
	v_mul_lo_u32 v7, s1, v6
	v_mul_lo_u32 v2, s0, v2
	v_mad_u64_u32 v[3:4], null, s0, v6, v[3:4]
	v_cmp_ge_u64_e64 s0, s[16:17], s[10:11]
	s_and_b32 vcc_lo, exec_lo, s0
	v_add3_u32 v4, v7, v4, v2
	s_cbranch_vccnz .LBB0_8
; %bb.7:                                ;   in Loop: Header=BB0_2 Depth=1
	v_mov_b32_e32 v7, v9
	v_mov_b32_e32 v8, v10
	s_branch .LBB0_2
.LBB0_8:
	s_lshl_b64 s[0:1], s[10:11], 3
	v_mul_hi_u32 v2, 0xaaaaaaab, v1
	s_add_u32 s0, s12, s0
	s_addc_u32 s1, s13, s1
	s_load_dwordx2 s[4:5], s[4:5], 0x20
	s_load_dwordx2 s[0:1], s[0:1], 0x0
	v_mul_hi_u32 v5, 0x33333334, v0
	v_lshrrev_b32_e32 v2, 3, v2
	v_mul_u32_u24_e32 v5, 5, v5
	v_mul_lo_u32 v2, v2, 12
	v_sub_nc_u32_e32 v16, v0, v5
	v_sub_nc_u32_e32 v1, v1, v2
	s_waitcnt lgkmcnt(0)
	v_cmp_gt_u64_e32 vcc_lo, s[4:5], v[9:10]
	v_mul_lo_u32 v6, s0, v10
	v_mul_lo_u32 v7, s1, v9
	v_mad_u64_u32 v[3:4], null, s0, v9, v[3:4]
	v_mul_u32_u24_e32 v2, 0x97, v1
	v_lshlrev_b32_e32 v51, 2, v2
	v_add3_u32 v4, v7, v4, v6
	v_lshlrev_b64 v[20:21], 2, v[3:4]
	s_and_saveexec_b32 s1, vcc_lo
	s_cbranch_execz .LBB0_12
; %bb.9:
	v_mov_b32_e32 v17, 0
	v_add_co_u32 v0, s0, s2, v20
	v_add_co_ci_u32_e64 v1, s0, s3, v21, s0
	v_lshlrev_b64 v[3:4], 2, v[16:17]
	s_mov_b32 s4, exec_lo
	v_add_co_u32 v3, s0, v0, v3
	v_add_co_ci_u32_e64 v4, s0, v1, v4, s0
	s_clause 0x1d
	global_load_dword v5, v[3:4], off
	global_load_dword v6, v[3:4], off offset:20
	global_load_dword v7, v[3:4], off offset:40
	;; [unrolled: 1-line block ×29, first 2 shown]
	v_lshlrev_b32_e32 v3, 2, v16
	v_add3_u32 v3, 0, v51, v3
	s_waitcnt vmcnt(28)
	ds_write2_b32 v3, v5, v6 offset1:5
	s_waitcnt vmcnt(26)
	ds_write2_b32 v3, v7, v8 offset0:10 offset1:15
	s_waitcnt vmcnt(24)
	ds_write2_b32 v3, v9, v10 offset0:20 offset1:25
	;; [unrolled: 2-line block ×14, first 2 shown]
	v_cmpx_eq_u32_e32 4, v16
	s_cbranch_execz .LBB0_11
; %bb.10:
	global_load_dword v0, v[0:1], off offset:600
	v_mov_b32_e32 v16, 4
	s_waitcnt vmcnt(0)
	ds_write_b32 v3, v0 offset:584
.LBB0_11:
	s_or_b32 exec_lo, exec_lo, s4
.LBB0_12:
	s_or_b32 exec_lo, exec_lo, s1
	v_lshl_add_u32 v48, v2, 2, 0
	v_lshlrev_b32_e32 v18, 2, v16
	s_waitcnt lgkmcnt(0)
	s_barrier
	buffer_gl0_inv
	s_mov_b32 s1, exec_lo
	v_add_nc_u32_e32 v50, v48, v18
	v_sub_nc_u32_e32 v2, v48, v18
                                        ; implicit-def: $vgpr0_vgpr1
	ds_read_u16 v5, v50
	ds_read_u16 v6, v2 offset:600
	s_waitcnt lgkmcnt(0)
	v_add_f16_e32 v4, v6, v5
	v_sub_f16_e32 v3, v5, v6
	v_cmpx_ne_u32_e32 0, v16
	s_xor_b32 s1, exec_lo, s1
	s_cbranch_execz .LBB0_14
; %bb.13:
	v_mov_b32_e32 v17, 0
	v_add_f16_e32 v4, v6, v5
	v_sub_f16_e32 v5, v5, v6
	v_lshlrev_b64 v[0:1], 2, v[16:17]
	v_add_co_u32 v0, s0, s8, v0
	v_add_co_ci_u32_e64 v1, s0, s9, v1, s0
	global_load_dword v0, v[0:1], off offset:560
	ds_read_u16 v1, v2 offset:602
	ds_read_u16 v3, v50 offset:2
	s_waitcnt lgkmcnt(0)
	v_add_f16_e32 v6, v1, v3
	v_sub_f16_e32 v1, v3, v1
	s_waitcnt vmcnt(0)
	v_lshrrev_b32_e32 v7, 16, v0
	v_fma_f16 v8, -v5, v7, v4
	v_fma_f16 v9, v6, v7, -v1
	v_fma_f16 v3, v6, v7, v1
	v_fma_f16 v4, v5, v7, v4
	v_fmac_f16_e32 v8, v0, v6
	v_fmac_f16_e32 v9, v5, v0
	v_fmac_f16_e32 v3, v5, v0
	v_fma_f16 v4, -v0, v6, v4
	v_mov_b32_e32 v0, v16
	v_mov_b32_e32 v1, v17
	v_pack_b32_f16 v5, v8, v9
	ds_write_b32 v2, v5 offset:600
.LBB0_14:
	s_andn2_saveexec_b32 s0, s1
	s_cbranch_execz .LBB0_16
; %bb.15:
	ds_read_b32 v0, v48 offset:300
	s_waitcnt lgkmcnt(0)
	v_pk_mul_f16 v5, 0xc0004000, v0
	v_mov_b32_e32 v0, 0
	v_mov_b32_e32 v1, 0
	ds_write_b32 v48, v5 offset:300
.LBB0_16:
	s_or_b32 exec_lo, exec_lo, s0
	v_lshlrev_b64 v[0:1], 2, v[0:1]
	s_add_u32 s0, s8, 0x230
	s_addc_u32 s1, s9, 0
	v_perm_b32 v3, v3, v4, 0x5040100
	v_add_nc_u32_e32 v52, 20, v16
	v_add_nc_u32_e32 v53, 25, v16
	v_add_co_u32 v0, s0, s0, v0
	v_add_co_ci_u32_e64 v1, s0, s1, v1, s0
	v_add_nc_u32_e32 v54, 5, v16
	v_add3_u32 v49, 0, v18, v51
	s_clause 0x6
	global_load_dword v5, v[0:1], off offset:20
	global_load_dword v6, v[0:1], off offset:40
	global_load_dword v7, v[0:1], off offset:60
	global_load_dword v8, v[0:1], off offset:80
	global_load_dword v9, v[0:1], off offset:100
	global_load_dword v10, v[0:1], off offset:120
	global_load_dword v11, v[0:1], off offset:140
	ds_write_b32 v50, v3
	ds_read_b32 v3, v50 offset:20
	ds_read_b32 v4, v2 offset:580
	global_load_dword v12, v[0:1], off offset:160
	s_waitcnt lgkmcnt(0)
	v_add_f16_e32 v13, v3, v4
	v_add_f16_sdwa v14, v4, v3 dst_sel:DWORD dst_unused:UNUSED_PAD src0_sel:WORD_1 src1_sel:WORD_1
	v_sub_f16_e32 v15, v3, v4
	v_sub_f16_sdwa v3, v3, v4 dst_sel:DWORD dst_unused:UNUSED_PAD src0_sel:WORD_1 src1_sel:WORD_1
	s_waitcnt vmcnt(7)
	v_lshrrev_b32_e32 v17, 16, v5
	v_fma_f16 v4, v15, v17, v13
	v_fma_f16 v19, v14, v17, v3
	v_fma_f16 v13, -v15, v17, v13
	v_fma_f16 v3, v14, v17, -v3
	v_fma_f16 v4, -v5, v14, v4
	v_fmac_f16_e32 v19, v15, v5
	v_fmac_f16_e32 v13, v5, v14
	v_fmac_f16_e32 v3, v15, v5
	s_waitcnt vmcnt(6)
	v_lshrrev_b32_e32 v5, 16, v6
	v_pack_b32_f16 v4, v4, v19
	v_pack_b32_f16 v3, v13, v3
	ds_write_b32 v50, v4 offset:20
	ds_write_b32 v2, v3 offset:580
	ds_read_b32 v3, v50 offset:40
	ds_read_b32 v4, v2 offset:560
	s_waitcnt lgkmcnt(0)
	v_add_f16_e32 v13, v3, v4
	v_add_f16_sdwa v14, v4, v3 dst_sel:DWORD dst_unused:UNUSED_PAD src0_sel:WORD_1 src1_sel:WORD_1
	v_sub_f16_e32 v15, v3, v4
	v_sub_f16_sdwa v3, v3, v4 dst_sel:DWORD dst_unused:UNUSED_PAD src0_sel:WORD_1 src1_sel:WORD_1
	global_load_dword v4, v[0:1], off offset:180
	v_fma_f16 v17, v15, v5, v13
	v_fma_f16 v19, v14, v5, v3
	v_fma_f16 v13, -v15, v5, v13
	v_fma_f16 v3, v14, v5, -v3
	v_fma_f16 v5, -v6, v14, v17
	v_fmac_f16_e32 v19, v15, v6
	v_fmac_f16_e32 v13, v6, v14
	v_fmac_f16_e32 v3, v15, v6
	s_waitcnt vmcnt(6)
	v_lshrrev_b32_e32 v6, 16, v7
	v_pack_b32_f16 v5, v5, v19
	v_pack_b32_f16 v3, v13, v3
	ds_write_b32 v50, v5 offset:40
	ds_write_b32 v2, v3 offset:560
	ds_read_b32 v3, v50 offset:60
	ds_read_b32 v5, v2 offset:540
	s_waitcnt lgkmcnt(0)
	v_add_f16_e32 v13, v3, v5
	v_add_f16_sdwa v14, v5, v3 dst_sel:DWORD dst_unused:UNUSED_PAD src0_sel:WORD_1 src1_sel:WORD_1
	v_sub_f16_e32 v15, v3, v5
	v_sub_f16_sdwa v3, v3, v5 dst_sel:DWORD dst_unused:UNUSED_PAD src0_sel:WORD_1 src1_sel:WORD_1
	global_load_dword v5, v[0:1], off offset:200
	;; [unrolled: 22-line block ×5, first 2 shown]
	v_fma_f16 v17, v15, v9, v13
	v_fma_f16 v19, v14, v9, v3
	v_fma_f16 v13, -v15, v9, v13
	v_fma_f16 v3, v14, v9, -v3
	v_fma_f16 v9, -v10, v14, v17
	v_fmac_f16_e32 v19, v15, v10
	v_fmac_f16_e32 v13, v10, v14
	v_fmac_f16_e32 v3, v15, v10
	s_waitcnt vmcnt(6)
	v_lshrrev_b32_e32 v10, 16, v11
	v_pack_b32_f16 v9, v9, v19
	v_mov_b32_e32 v19, 0
	v_pack_b32_f16 v3, v13, v3
	ds_write_b32 v50, v9 offset:120
	ds_write_b32 v2, v3 offset:480
	ds_read_b32 v3, v50 offset:140
	ds_read_b32 v9, v2 offset:460
	global_load_dword v0, v[0:1], off offset:280
	s_waitcnt lgkmcnt(0)
	v_add_f16_e32 v13, v3, v9
	v_add_f16_sdwa v14, v9, v3 dst_sel:DWORD dst_unused:UNUSED_PAD src0_sel:WORD_1 src1_sel:WORD_1
	v_sub_f16_e32 v15, v3, v9
	v_sub_f16_sdwa v3, v3, v9 dst_sel:DWORD dst_unused:UNUSED_PAD src0_sel:WORD_1 src1_sel:WORD_1
	v_fma_f16 v1, v15, v10, v13
	v_fma_f16 v9, v14, v10, v3
	v_fma_f16 v13, -v15, v10, v13
	v_fma_f16 v3, v14, v10, -v3
	v_fma_f16 v1, -v11, v14, v1
	v_fmac_f16_e32 v9, v15, v11
	v_fmac_f16_e32 v13, v11, v14
	;; [unrolled: 1-line block ×3, first 2 shown]
	v_pack_b32_f16 v1, v1, v9
	s_waitcnt vmcnt(6)
	v_lshrrev_b32_e32 v9, 16, v12
	v_pack_b32_f16 v3, v13, v3
	ds_write_b32 v50, v1 offset:140
	ds_write_b32 v2, v3 offset:460
	ds_read_b32 v1, v50 offset:160
	ds_read_b32 v3, v2 offset:440
	s_waitcnt lgkmcnt(0)
	v_add_f16_e32 v10, v1, v3
	v_add_f16_sdwa v11, v3, v1 dst_sel:DWORD dst_unused:UNUSED_PAD src0_sel:WORD_1 src1_sel:WORD_1
	v_sub_f16_e32 v13, v1, v3
	v_sub_f16_sdwa v1, v1, v3 dst_sel:DWORD dst_unused:UNUSED_PAD src0_sel:WORD_1 src1_sel:WORD_1
	v_fma_f16 v3, v13, v9, v10
	v_fma_f16 v14, v11, v9, v1
	v_fma_f16 v10, -v13, v9, v10
	v_fma_f16 v1, v11, v9, -v1
	v_fma_f16 v3, -v12, v11, v3
	v_fmac_f16_e32 v14, v13, v12
	v_fmac_f16_e32 v10, v12, v11
	;; [unrolled: 1-line block ×3, first 2 shown]
	v_pack_b32_f16 v3, v3, v14
	v_mov_b32_e32 v14, 4
	v_pack_b32_f16 v1, v10, v1
	ds_write_b32 v50, v3 offset:160
	ds_write_b32 v2, v1 offset:440
	ds_read_b32 v1, v50 offset:180
	ds_read_b32 v3, v2 offset:420
	s_waitcnt lgkmcnt(0)
	v_add_f16_e32 v10, v1, v3
	v_add_f16_sdwa v11, v3, v1 dst_sel:DWORD dst_unused:UNUSED_PAD src0_sel:WORD_1 src1_sel:WORD_1
	v_sub_f16_e32 v12, v1, v3
	v_sub_f16_sdwa v1, v1, v3 dst_sel:DWORD dst_unused:UNUSED_PAD src0_sel:WORD_1 src1_sel:WORD_1
	s_waitcnt vmcnt(5)
	v_lshrrev_b32_e32 v9, 16, v4
	v_fma_f16 v3, v12, v9, v10
	v_fma_f16 v13, v11, v9, v1
	v_fma_f16 v10, -v12, v9, v10
	v_fma_f16 v1, v11, v9, -v1
	v_fma_f16 v3, -v4, v11, v3
	v_fmac_f16_e32 v13, v12, v4
	v_fmac_f16_e32 v10, v4, v11
	;; [unrolled: 1-line block ×3, first 2 shown]
	v_pack_b32_f16 v3, v3, v13
	v_pack_b32_f16 v1, v10, v1
	ds_write_b32 v50, v3 offset:180
	ds_write_b32 v2, v1 offset:420
	ds_read_b32 v1, v50 offset:200
	ds_read_b32 v3, v2 offset:400
	s_waitcnt lgkmcnt(0)
	v_add_f16_e32 v9, v1, v3
	v_add_f16_sdwa v10, v3, v1 dst_sel:DWORD dst_unused:UNUSED_PAD src0_sel:WORD_1 src1_sel:WORD_1
	s_waitcnt vmcnt(4)
	v_lshrrev_b32_e32 v4, 16, v5
	v_sub_f16_e32 v11, v1, v3
	v_sub_f16_sdwa v1, v1, v3 dst_sel:DWORD dst_unused:UNUSED_PAD src0_sel:WORD_1 src1_sel:WORD_1
	v_fma_f16 v3, v11, v4, v9
	v_fma_f16 v12, v10, v4, v1
	v_fma_f16 v9, -v11, v4, v9
	v_fma_f16 v1, v10, v4, -v1
	v_fma_f16 v3, -v5, v10, v3
	v_fmac_f16_e32 v12, v11, v5
	v_fmac_f16_e32 v9, v5, v10
	;; [unrolled: 1-line block ×3, first 2 shown]
	v_pack_b32_f16 v3, v3, v12
	v_lshlrev_b64 v[12:13], 2, v[18:19]
	v_pack_b32_f16 v1, v9, v1
	ds_write_b32 v50, v3 offset:200
	ds_write_b32 v2, v1 offset:400
	ds_read_b32 v1, v50 offset:220
	ds_read_b32 v3, v2 offset:380
	v_lshlrev_b32_e32 v18, 2, v54
	v_lshlrev_b64 v[22:23], 2, v[18:19]
	s_waitcnt lgkmcnt(0)
	v_add_f16_e32 v5, v1, v3
	s_waitcnt vmcnt(3)
	v_lshrrev_b32_e32 v4, 16, v6
	v_add_f16_sdwa v9, v3, v1 dst_sel:DWORD dst_unused:UNUSED_PAD src0_sel:WORD_1 src1_sel:WORD_1
	v_sub_f16_e32 v10, v1, v3
	v_sub_f16_sdwa v1, v1, v3 dst_sel:DWORD dst_unused:UNUSED_PAD src0_sel:WORD_1 src1_sel:WORD_1
	v_fma_f16 v3, v10, v4, v5
	v_fma_f16 v11, v9, v4, v1
	v_fma_f16 v5, -v10, v4, v5
	v_fma_f16 v1, v9, v4, -v1
	v_fma_f16 v3, -v6, v9, v3
	v_fmac_f16_e32 v11, v10, v6
	v_fmac_f16_e32 v5, v6, v9
	;; [unrolled: 1-line block ×3, first 2 shown]
	v_pack_b32_f16 v3, v3, v11
	v_pack_b32_f16 v1, v5, v1
	ds_write_b32 v50, v3 offset:220
	ds_write_b32 v2, v1 offset:380
	ds_read_b32 v1, v50 offset:240
	ds_read_b32 v3, v2 offset:360
	s_waitcnt vmcnt(2)
	v_lshrrev_b32_e32 v4, 16, v7
	s_waitcnt lgkmcnt(0)
	v_add_f16_e32 v5, v1, v3
	v_add_f16_sdwa v6, v3, v1 dst_sel:DWORD dst_unused:UNUSED_PAD src0_sel:WORD_1 src1_sel:WORD_1
	v_sub_f16_e32 v9, v1, v3
	v_sub_f16_sdwa v1, v1, v3 dst_sel:DWORD dst_unused:UNUSED_PAD src0_sel:WORD_1 src1_sel:WORD_1
	v_fma_f16 v3, v9, v4, v5
	v_fma_f16 v10, v6, v4, v1
	v_fma_f16 v5, -v9, v4, v5
	v_fma_f16 v1, v6, v4, -v1
	v_fma_f16 v3, -v7, v6, v3
	v_fmac_f16_e32 v10, v9, v7
	v_fmac_f16_e32 v5, v7, v6
	;; [unrolled: 1-line block ×3, first 2 shown]
	v_pack_b32_f16 v3, v3, v10
	v_pack_b32_f16 v1, v5, v1
	ds_write_b32 v50, v3 offset:240
	ds_write_b32 v2, v1 offset:360
	ds_read_b32 v1, v50 offset:260
	ds_read_b32 v3, v2 offset:340
	s_waitcnt vmcnt(1)
	v_lshrrev_b32_e32 v4, 16, v8
	s_waitcnt lgkmcnt(0)
	v_add_f16_e32 v5, v1, v3
	v_add_f16_sdwa v6, v3, v1 dst_sel:DWORD dst_unused:UNUSED_PAD src0_sel:WORD_1 src1_sel:WORD_1
	v_sub_f16_e32 v7, v1, v3
	v_sub_f16_sdwa v1, v1, v3 dst_sel:DWORD dst_unused:UNUSED_PAD src0_sel:WORD_1 src1_sel:WORD_1
	v_fma_f16 v3, v7, v4, v5
	v_fma_f16 v9, v6, v4, v1
	v_fma_f16 v5, -v7, v4, v5
	v_fma_f16 v1, v6, v4, -v1
	v_mul_u32_u24_e32 v4, 10, v16
	v_fma_f16 v3, -v8, v6, v3
	v_fmac_f16_e32 v9, v7, v8
	v_fmac_f16_e32 v5, v8, v6
	;; [unrolled: 1-line block ×3, first 2 shown]
	v_pack_b32_f16 v3, v3, v9
	v_pack_b32_f16 v1, v5, v1
	ds_write_b32 v50, v3 offset:260
	ds_write_b32 v2, v1 offset:340
	ds_read_b32 v1, v50 offset:280
	ds_read_b32 v3, v2 offset:320
	v_and_b32_e32 v5, 0xff, v52
	s_waitcnt vmcnt(0)
	v_lshrrev_b32_e32 v6, 16, v0
	s_waitcnt lgkmcnt(0)
	v_add_f16_e32 v7, v1, v3
	v_add_f16_sdwa v8, v3, v1 dst_sel:DWORD dst_unused:UNUSED_PAD src0_sel:WORD_1 src1_sel:WORD_1
	v_sub_f16_e32 v9, v1, v3
	v_sub_f16_sdwa v1, v1, v3 dst_sel:DWORD dst_unused:UNUSED_PAD src0_sel:WORD_1 src1_sel:WORD_1
	v_lshlrev_b32_e32 v3, 2, v4
	v_mul_lo_u16 v4, 0xcd, v5
	v_fma_f16 v5, v9, v6, v7
	v_fma_f16 v10, v8, v6, v1
	v_fma_f16 v7, -v9, v6, v7
	v_fma_f16 v1, v8, v6, -v1
	v_lshrrev_b16 v4, 11, v4
	v_fma_f16 v5, -v0, v8, v5
	v_fmac_f16_e32 v10, v9, v0
	v_and_b32_e32 v6, 0xff, v53
	v_fmac_f16_e32 v7, v0, v8
	v_fmac_f16_e32 v1, v9, v0
	v_mul_lo_u16 v4, v4, 10
	v_pack_b32_f16 v5, v5, v10
	v_mul_lo_u16 v9, 0xcd, v6
	v_add3_u32 v0, 0, v3, v51
	v_pack_b32_f16 v1, v7, v1
	v_sub_nc_u16 v17, v52, v4
	ds_write_b32 v50, v5 offset:280
	ds_write_b32 v2, v1 offset:320
	s_waitcnt lgkmcnt(0)
	s_barrier
	buffer_gl0_inv
	s_barrier
	buffer_gl0_inv
	ds_read2_b32 v[1:2], v49 offset0:45 offset1:50
	ds_read2_b32 v[3:4], v49 offset0:75 offset1:80
	;; [unrolled: 1-line block ×4, first 2 shown]
	v_lshrrev_b16 v15, 11, v9
	ds_read2_b32 v[9:10], v49 offset0:15 offset1:20
	ds_read2_b32 v[24:25], v49 offset0:65 offset1:70
	;; [unrolled: 1-line block ×10, first 2 shown]
	ds_read_b32 v18, v49 offset:580
	ds_read_b32 v42, v50
	s_waitcnt lgkmcnt(0)
	s_barrier
	buffer_gl0_inv
	v_lshlrev_b32_sdwa v11, v14, v17 dst_sel:DWORD dst_unused:UNUSED_PAD src0_sel:DWORD src1_sel:BYTE_0
	v_lshrrev_b32_e32 v106, 16, v9
	v_lshrrev_b32_e32 v107, 16, v10
	v_add_f16_e32 v66, v24, v26
	v_sub_f16_sdwa v67, v24, v26 dst_sel:DWORD dst_unused:UNUSED_PAD src0_sel:WORD_1 src1_sel:WORD_1
	v_pk_add_f16 v70, v28, v30
	v_pk_add_f16 v88, v29, v31
	;; [unrolled: 1-line block ×4, first 2 shown]
	v_add_f16_e32 v43, v3, v5
	v_sub_f16_sdwa v44, v1, v7 dst_sel:DWORD dst_unused:UNUSED_PAD src0_sel:WORD_1 src1_sel:WORD_1
	v_sub_f16_sdwa v45, v3, v5 dst_sel:DWORD dst_unused:UNUSED_PAD src0_sel:WORD_1 src1_sel:WORD_1
	v_pk_add_f16 v116, v42, v39
	v_sub_f16_e32 v47, v1, v3
	v_add_f16_e32 v55, v1, v7
	v_sub_f16_e32 v57, v3, v1
	v_add_f16_sdwa v59, v3, v5 dst_sel:DWORD dst_unused:UNUSED_PAD src0_sel:WORD_1 src1_sel:WORD_1
	v_sub_f16_e32 v60, v1, v7
	v_sub_f16_e32 v61, v3, v5
	v_sub_f16_sdwa v62, v1, v3 dst_sel:DWORD dst_unused:UNUSED_PAD src0_sel:WORD_1 src1_sel:WORD_1
	v_add_f16_sdwa v64, v1, v7 dst_sel:DWORD dst_unused:UNUSED_PAD src0_sel:WORD_1 src1_sel:WORD_1
	v_sub_f16_sdwa v1, v3, v1 dst_sel:DWORD dst_unused:UNUSED_PAD src0_sel:WORD_1 src1_sel:WORD_1
	v_sub_f16_e32 v68, v30, v24
	v_sub_f16_e32 v69, v24, v30
	v_add_f16_sdwa v71, v24, v26 dst_sel:DWORD dst_unused:UNUSED_PAD src0_sel:WORD_1 src1_sel:WORD_1
	v_add_f16_e32 v72, v4, v6
	v_sub_f16_sdwa v74, v4, v6 dst_sel:DWORD dst_unused:UNUSED_PAD src0_sel:WORD_1 src1_sel:WORD_1
	v_sub_f16_e32 v76, v2, v4
	v_sub_f16_e32 v79, v4, v2
	v_add_f16_sdwa v81, v4, v6 dst_sel:DWORD dst_unused:UNUSED_PAD src0_sel:WORD_1 src1_sel:WORD_1
	v_sub_f16_e32 v82, v4, v6
	v_sub_f16_sdwa v83, v2, v4 dst_sel:DWORD dst_unused:UNUSED_PAD src0_sel:WORD_1 src1_sel:WORD_1
	v_sub_f16_sdwa v84, v4, v2 dst_sel:DWORD dst_unused:UNUSED_PAD src0_sel:WORD_1 src1_sel:WORD_1
	v_sub_f16_e32 v89, v24, v26
	v_sub_f16_sdwa v90, v30, v24 dst_sel:DWORD dst_unused:UNUSED_PAD src0_sel:WORD_1 src1_sel:WORD_1
	v_sub_f16_sdwa v91, v24, v30 dst_sel:DWORD dst_unused:UNUSED_PAD src0_sel:WORD_1 src1_sel:WORD_1
	v_add_f16_e32 v92, v25, v27
	v_sub_f16_sdwa v93, v25, v27 dst_sel:DWORD dst_unused:UNUSED_PAD src0_sel:WORD_1 src1_sel:WORD_1
	v_sub_f16_e32 v94, v31, v25
	v_sub_f16_e32 v95, v25, v31
	v_add_f16_sdwa v96, v25, v27 dst_sel:DWORD dst_unused:UNUSED_PAD src0_sel:WORD_1 src1_sel:WORD_1
	v_sub_f16_e32 v97, v25, v27
	v_sub_f16_sdwa v98, v31, v25 dst_sel:DWORD dst_unused:UNUSED_PAD src0_sel:WORD_1 src1_sel:WORD_1
	v_sub_f16_sdwa v99, v25, v31 dst_sel:DWORD dst_unused:UNUSED_PAD src0_sel:WORD_1 src1_sel:WORD_1
	;; [unrolled: 1-line block ×3, first 2 shown]
	v_sub_f16_e32 v113, v39, v41
	v_add_f16_e32 v114, v39, v37
	v_sub_f16_e32 v115, v41, v39
	v_sub_f16_e32 v117, v39, v37
	v_sub_f16_sdwa v118, v39, v41 dst_sel:DWORD dst_unused:UNUSED_PAD src0_sel:WORD_1 src1_sel:WORD_1
	v_add_f16_sdwa v119, v39, v37 dst_sel:DWORD dst_unused:UNUSED_PAD src0_sel:WORD_1 src1_sel:WORD_1
	v_sub_f16_sdwa v39, v41, v39 dst_sel:DWORD dst_unused:UNUSED_PAD src0_sel:WORD_1 src1_sel:WORD_1
	v_add_f16_e32 v122, v41, v35
	v_sub_f16_sdwa v123, v41, v35 dst_sel:DWORD dst_unused:UNUSED_PAD src0_sel:WORD_1 src1_sel:WORD_1
	v_pk_add_f16 v3, v58, v3
	v_pk_add_f16 v4, v80, v4
	v_sub_f16_e32 v58, v37, v35
	v_sub_f16_e32 v80, v35, v37
	v_pk_add_f16 v24, v70, v24
	v_pk_add_f16 v25, v88, v25
	v_add_f16_sdwa v70, v41, v35 dst_sel:DWORD dst_unused:UNUSED_PAD src0_sel:WORD_1 src1_sel:WORD_1
	v_sub_f16_e32 v88, v41, v35
	v_pk_add_f16 v41, v116, v41
	v_sub_f16_sdwa v116, v37, v35 dst_sel:DWORD dst_unused:UNUSED_PAD src0_sel:WORD_1 src1_sel:WORD_1
	v_sub_f16_sdwa v65, v5, v7 dst_sel:DWORD dst_unused:UNUSED_PAD src0_sel:WORD_1 src1_sel:WORD_1
	v_sub_f16_e32 v75, v8, v6
	v_add_f16_e32 v77, v2, v8
	v_sub_f16_sdwa v100, v30, v32 dst_sel:DWORD dst_unused:UNUSED_PAD src0_sel:WORD_1 src1_sel:WORD_1
	v_add_f16_e32 v101, v30, v32
	v_sub_f16_e32 v102, v30, v32
	v_add_f16_sdwa v30, v30, v32 dst_sel:DWORD dst_unused:UNUSED_PAD src0_sel:WORD_1 src1_sel:WORD_1
	v_add_f16_e32 v104, v31, v33
	v_lshrrev_b32_e32 v108, 16, v28
	v_add_f16_e32 v110, v34, v36
	v_add_f16_e32 v111, v40, v18
	v_pk_add_f16 v120, v38, v40
	v_add_f16_e32 v58, v113, v58
	v_sub_f16_e32 v113, v32, v26
	v_add_f16_e32 v80, v115, v80
	v_lshrrev_b32_e32 v115, 16, v42
	v_add_f16_e32 v116, v118, v116
	v_sub_f16_sdwa v118, v35, v37 dst_sel:DWORD dst_unused:UNUSED_PAD src0_sel:WORD_1 src1_sel:WORD_1
	v_fma_f16 v122, -0.5, v122, v42
	v_fma_f16 v42, -0.5, v114, v42
	v_sub_f16_e32 v114, v26, v32
	v_sub_f16_sdwa v73, v2, v8 dst_sel:DWORD dst_unused:UNUSED_PAD src0_sel:WORD_1 src1_sel:WORD_1
	v_sub_f16_e32 v78, v6, v8
	v_sub_f16_e32 v85, v2, v8
	v_add_f16_sdwa v2, v2, v8 dst_sel:DWORD dst_unused:UNUSED_PAD src0_sel:WORD_1 src1_sel:WORD_1
	v_sub_f16_sdwa v86, v8, v6 dst_sel:DWORD dst_unused:UNUSED_PAD src0_sel:WORD_1 src1_sel:WORD_1
	v_sub_f16_sdwa v87, v6, v8 dst_sel:DWORD dst_unused:UNUSED_PAD src0_sel:WORD_1 src1_sel:WORD_1
	;; [unrolled: 1-line block ×3, first 2 shown]
	v_sub_f16_e32 v105, v31, v33
	v_add_f16_sdwa v31, v31, v33 dst_sel:DWORD dst_unused:UNUSED_PAD src0_sel:WORD_1 src1_sel:WORD_1
	v_lshrrev_b32_e32 v109, 16, v29
	v_lshrrev_b32_e32 v121, 16, v38
	v_fma_f16 v43, -0.5, v43, v9
	v_fma_f16 v9, -0.5, v55, v9
	;; [unrolled: 1-line block ×4, first 2 shown]
	v_sub_f16_e32 v72, v40, v34
	v_sub_f16_e32 v77, v34, v40
	v_fma_f16 v66, -0.5, v66, v28
	v_fma_f16 v28, -0.5, v101, v28
	;; [unrolled: 1-line block ×4, first 2 shown]
	v_sub_f16_sdwa v101, v40, v34 dst_sel:DWORD dst_unused:UNUSED_PAD src0_sel:WORD_1 src1_sel:WORD_1
	v_sub_f16_sdwa v104, v34, v40 dst_sel:DWORD dst_unused:UNUSED_PAD src0_sel:WORD_1 src1_sel:WORD_1
	v_fma_f16 v110, -0.5, v110, v38
	v_fma_f16 v38, -0.5, v111, v38
	v_sub_f16_sdwa v111, v40, v18 dst_sel:DWORD dst_unused:UNUSED_PAD src0_sel:WORD_1 src1_sel:WORD_1
	v_sub_f16_e32 v124, v40, v18
	v_add_f16_sdwa v40, v40, v18 dst_sel:DWORD dst_unused:UNUSED_PAD src0_sel:WORD_1 src1_sel:WORD_1
	v_fma_f16 v70, -0.5, v70, v115
	v_fmac_f16_e32 v115, -0.5, v119
	v_sub_f16_sdwa v119, v32, v26 dst_sel:DWORD dst_unused:UNUSED_PAD src0_sel:WORD_1 src1_sel:WORD_1
	v_add_f16_e32 v39, v39, v118
	v_sub_f16_sdwa v118, v26, v32 dst_sel:DWORD dst_unused:UNUSED_PAD src0_sel:WORD_1 src1_sel:WORD_1
	v_fma_f16 v59, -0.5, v59, v106
	v_fmac_f16_e32 v106, -0.5, v64
	v_add_f16_e32 v1, v1, v65
	v_sub_f16_sdwa v65, v34, v36 dst_sel:DWORD dst_unused:UNUSED_PAD src0_sel:WORD_1 src1_sel:WORD_1
	v_add_f16_e32 v68, v68, v113
	v_add_f16_sdwa v113, v34, v36 dst_sel:DWORD dst_unused:UNUSED_PAD src0_sel:WORD_1 src1_sel:WORD_1
	v_add_f16_e32 v69, v69, v114
	v_sub_f16_e32 v114, v34, v36
	v_fma_f16 v71, -0.5, v71, v108
	v_fmac_f16_e32 v108, -0.5, v30
	v_sub_f16_e32 v30, v36, v18
	v_add_f16_e32 v75, v76, v75
	v_sub_f16_sdwa v76, v36, v18 dst_sel:DWORD dst_unused:UNUSED_PAD src0_sel:WORD_1 src1_sel:WORD_1
	v_pk_add_f16 v34, v120, v34
	v_sub_f16_e32 v46, v7, v5
	v_sub_f16_e32 v56, v5, v7
	v_sub_f16_sdwa v63, v7, v5 dst_sel:DWORD dst_unused:UNUSED_PAD src0_sel:WORD_1 src1_sel:WORD_1
	v_sub_f16_sdwa v64, v27, v33 dst_sel:DWORD dst_unused:UNUSED_PAD src0_sel:WORD_1 src1_sel:WORD_1
	v_add_f16_e32 v90, v90, v119
	v_sub_f16_e32 v119, v18, v36
	v_add_f16_e32 v91, v91, v118
	v_sub_f16_sdwa v118, v18, v36 dst_sel:DWORD dst_unused:UNUSED_PAD src0_sel:WORD_1 src1_sel:WORD_1
	v_add_f16_e32 v78, v79, v78
	v_add_f16_e32 v79, v83, v86
	v_fma_f16 v81, -0.5, v81, v107
	v_fmac_f16_e32 v107, -0.5, v2
	v_add_f16_e32 v2, v84, v87
	v_fma_f16 v83, -0.5, v96, v109
	v_fmac_f16_e32 v109, -0.5, v31
	;; [unrolled: 3-line block ×3, first 2 shown]
	v_add_f16_e32 v40, v104, v76
	v_pk_add_f16 v3, v3, v5
	v_pk_add_f16 v4, v4, v6
	;; [unrolled: 1-line block ×5, first 2 shown]
	v_fmamk_f16 v36, v44, 0xbb9c, v43
	v_fmamk_f16 v76, v60, 0x3b9c, v59
	;; [unrolled: 1-line block ×3, first 2 shown]
	v_fmac_f16_e32 v106, 0x3b9c, v61
	v_fmac_f16_e32 v59, 0xbb9c, v60
	v_add_f16_e32 v46, v47, v46
	v_sub_f16_e32 v47, v33, v27
	v_add_f16_e32 v56, v57, v56
	v_sub_f16_e32 v57, v27, v33
	v_add_f16_e32 v62, v62, v63
	v_sub_f16_sdwa v63, v33, v27 dst_sel:DWORD dst_unused:UNUSED_PAD src0_sel:WORD_1 src1_sel:WORD_1
	v_add_f16_e32 v31, v99, v64
	v_add_f16_e32 v64, v72, v119
	;; [unrolled: 1-line block ×3, first 2 shown]
	v_pk_add_f16 v24, v41, v35
	v_fmamk_f16 v41, v45, 0x3b9c, v9
	v_fmac_f16_e32 v9, 0xbb9c, v45
	v_fmamk_f16 v96, v73, 0xbb9c, v55
	v_fmamk_f16 v99, v85, 0x3b9c, v81
	v_fmac_f16_e32 v81, 0xbb9c, v85
	v_fmamk_f16 v101, v82, 0xbb9c, v107
	v_fmac_f16_e32 v107, 0x3b9c, v82
	;; [unrolled: 2-line block ×3, first 2 shown]
	v_pk_add_f16 v3, v3, v7
	v_fmamk_f16 v7, v111, 0xbb9c, v110
	v_pk_add_f16 v5, v5, v32
	v_pk_add_f16 v6, v6, v33
	v_fmamk_f16 v32, v124, 0x3b9c, v77
	v_fmac_f16_e32 v77, 0xbb9c, v124
	v_fmamk_f16 v33, v114, 0xbb9c, v121
	v_fmac_f16_e32 v121, 0x3b9c, v114
	v_fmac_f16_e32 v36, 0xb8b4, v45
	;; [unrolled: 1-line block ×5, first 2 shown]
	v_pk_add_f16 v4, v4, v8
	v_fmamk_f16 v8, v65, 0x3b9c, v38
	v_fmac_f16_e32 v38, 0xbb9c, v65
	v_fmamk_f16 v35, v88, 0xbb9c, v115
	v_fmac_f16_e32 v115, 0x3b9c, v88
	v_fmac_f16_e32 v43, 0x3b9c, v44
	;; [unrolled: 1-line block ×3, first 2 shown]
	v_add_f16_e32 v63, v98, v63
	v_fmamk_f16 v26, v112, 0xbb9c, v122
	v_fmac_f16_e32 v122, 0x3b9c, v112
	v_fmamk_f16 v27, v123, 0x3b9c, v42
	v_fmac_f16_e32 v42, 0xbb9c, v123
	;; [unrolled: 2-line block ×7, first 2 shown]
	v_fmac_f16_e32 v110, 0x3b9c, v111
	v_pk_add_f16 v24, v24, v37
	v_fmac_f16_e32 v41, 0xb8b4, v44
	v_fmac_f16_e32 v9, 0x38b4, v44
	;; [unrolled: 1-line block ×10, first 2 shown]
	v_pk_add_f16 v18, v25, v18
	v_fmac_f16_e32 v32, 0x38b4, v114
	v_fmac_f16_e32 v77, 0xb8b4, v114
	;; [unrolled: 1-line block ×15, first 2 shown]
	v_add_f16_e32 v47, v94, v47
	v_add_f16_e32 v57, v95, v57
	v_fmamk_f16 v86, v100, 0xbb9c, v66
	v_fmac_f16_e32 v66, 0x3b9c, v100
	v_fmamk_f16 v87, v67, 0x3b9c, v28
	v_fmac_f16_e32 v28, 0xbb9c, v67
	;; [unrolled: 2-line block ×4, first 2 shown]
	v_fmac_f16_e32 v26, 0xb8b4, v123
	v_fmac_f16_e32 v122, 0x38b4, v123
	;; [unrolled: 1-line block ×17, first 2 shown]
	v_pk_add_f16 v1, v24, v3
	v_pk_add_f16 v3, v24, v3 neg_lo:[0,1] neg_hi:[0,1]
	v_fmac_f16_e32 v96, 0x34f2, v75
	v_fmac_f16_e32 v99, 0x34f2, v79
	;; [unrolled: 1-line block ×5, first 2 shown]
	v_pk_add_f16 v2, v5, v4
	v_pk_add_f16 v4, v5, v4 neg_lo:[0,1] neg_hi:[0,1]
	v_fmac_f16_e32 v119, 0x34f2, v31
	v_fmac_f16_e32 v109, 0x34f2, v31
	;; [unrolled: 1-line block ×7, first 2 shown]
	v_pk_add_f16 v5, v6, v18
	v_pk_add_f16 v6, v6, v18 neg_lo:[0,1] neg_hi:[0,1]
	v_mul_f16_e32 v18, 0xb8b4, v76
	v_mul_f16_e32 v24, 0x38b4, v36
	;; [unrolled: 1-line block ×4, first 2 shown]
	v_fmac_f16_e32 v8, 0x34f2, v30
	v_fmac_f16_e32 v38, 0x34f2, v30
	v_mul_f16_e32 v30, 0x34f2, v84
	v_mul_f16_e32 v37, 0xb4f2, v106
	v_fmac_f16_e32 v70, 0xb8b4, v88
	v_fmac_f16_e32 v35, 0x34f2, v39
	v_fmac_f16_e32 v115, 0x34f2, v39
	v_fmac_f16_e32 v43, 0x34f2, v46
	v_mul_f16_e32 v39, 0xb8b4, v59
	v_mul_f16_e32 v40, 0xba79, v59
	v_fmac_f16_e32 v86, 0xb8b4, v67
	v_fmac_f16_e32 v66, 0x38b4, v67
	;; [unrolled: 1-line block ×23, first 2 shown]
	v_mul_f16_e32 v44, 0xb8b4, v99
	v_mul_f16_e32 v45, 0x38b4, v96
	;; [unrolled: 1-line block ×16, first 2 shown]
	v_fmac_f16_e32 v18, 0x3a79, v36
	v_fmac_f16_e32 v24, 0x3a79, v76
	;; [unrolled: 1-line block ×33, first 2 shown]
	v_add_f16_e32 v7, v26, v18
	v_sub_f16_e32 v8, v26, v18
	v_add_f16_e32 v9, v27, v25
	v_sub_f16_e32 v10, v27, v25
	;; [unrolled: 2-line block ×4, first 2 shown]
	v_add_f16_e32 v32, v35, v30
	v_add_f16_e32 v34, v115, v37
	;; [unrolled: 1-line block ×4, first 2 shown]
	v_sub_f16_e32 v30, v35, v30
	v_sub_f16_e32 v27, v122, v39
	;; [unrolled: 1-line block ×4, first 2 shown]
	v_add_f16_e32 v38, v86, v44
	v_sub_f16_e32 v39, v86, v44
	v_add_f16_e32 v40, v87, v46
	v_sub_f16_e32 v41, v87, v46
	;; [unrolled: 2-line block ×16, first 2 shown]
	v_pack_b32_f16 v7, v7, v31
	v_pack_b32_f16 v18, v18, v34
	;; [unrolled: 1-line block ×24, first 2 shown]
	ds_write2_b32 v0, v1, v7 offset1:1
	ds_write2_b32 v0, v9, v18 offset0:2 offset1:3
	ds_write2_b32 v0, v26, v3 offset0:4 offset1:5
	;; [unrolled: 1-line block ×14, first 2 shown]
	v_mul_lo_u16 v2, v15, 10
	v_add_co_u32 v0, s0, s8, v22
	v_add_co_ci_u32_e64 v1, s0, s9, v23, s0
	v_sub_nc_u16 v18, v53, v2
	v_add_co_u32 v12, s0, s8, v12
	s_waitcnt lgkmcnt(0)
	s_barrier
	buffer_gl0_inv
	s_clause 0x1
	global_load_dwordx4 v[8:11], v11, s[8:9]
	global_load_dwordx4 v[4:7], v[0:1], off
	v_lshlrev_b32_sdwa v0, v14, v18 dst_sel:DWORD dst_unused:UNUSED_PAD src0_sel:DWORD src1_sel:BYTE_0
	v_add_co_ci_u32_e64 v13, s0, s9, v13, s0
	v_mov_b32_e32 v22, 2
	s_clause 0x1
	global_load_dwordx4 v[0:3], v0, s[8:9]
	global_load_dwordx4 v[12:15], v[12:13], off
	ds_read2_b32 v[26:27], v49 offset0:35 offset1:40
	ds_read2_b32 v[28:29], v49 offset0:65 offset1:70
	;; [unrolled: 1-line block ×4, first 2 shown]
	v_lshlrev_b32_sdwa v56, v22, v17 dst_sel:DWORD dst_unused:UNUSED_PAD src0_sel:DWORD src1_sel:BYTE_0
	v_lshlrev_b32_sdwa v55, v22, v18 dst_sel:DWORD dst_unused:UNUSED_PAD src0_sel:DWORD src1_sel:BYTE_0
	ds_read2_b32 v[40:41], v49 offset0:105 offset1:110
	ds_read2_b32 v[42:43], v49 offset0:135 offset1:140
	;; [unrolled: 1-line block ×7, first 2 shown]
	ds_read_b32 v58, v49 offset:580
	ds_read2_b32 v[17:18], v49 offset0:25 offset1:30
	ds_read_b32 v57, v50
	ds_read2_b32 v[24:25], v49 offset0:5 offset1:10
	ds_read2_b32 v[22:23], v49 offset0:15 offset1:20
	s_waitcnt vmcnt(0) lgkmcnt(0)
	s_barrier
	buffer_gl0_inv
	v_lshrrev_b32_e32 v65, 16, v41
	v_lshrrev_b32_e32 v66, 16, v43
	;; [unrolled: 1-line block ×30, first 2 shown]
	v_mul_f16_sdwa v89, v47, v8 dst_sel:DWORD dst_unused:UNUSED_PAD src0_sel:DWORD src1_sel:WORD_1
	v_mul_f16_sdwa v90, v63, v8 dst_sel:DWORD dst_unused:UNUSED_PAD src0_sel:DWORD src1_sel:WORD_1
	;; [unrolled: 1-line block ×34, first 2 shown]
	v_fma_f16 v63, v63, v8, -v89
	v_mul_f16_sdwa v89, v77, v15 dst_sel:DWORD dst_unused:UNUSED_PAD src0_sel:DWORD src1_sel:WORD_1
	v_fma_f16 v64, v64, v9, -v91
	v_mul_f16_sdwa v91, v39, v15 dst_sel:DWORD dst_unused:UNUSED_PAD src0_sel:DWORD src1_sel:WORD_1
	;; [unrolled: 2-line block ×4, first 2 shown]
	v_fmac_f16_e32 v90, v47, v8
	v_fmac_f16_e32 v92, v45, v9
	;; [unrolled: 1-line block ×4, first 2 shown]
	v_mul_f16_sdwa v8, v79, v13 dst_sel:DWORD dst_unused:UNUSED_PAD src0_sel:DWORD src1_sel:WORD_1
	v_mul_f16_sdwa v9, v29, v13 dst_sel:DWORD dst_unused:UNUSED_PAD src0_sel:DWORD src1_sel:WORD_1
	;; [unrolled: 1-line block ×6, first 2 shown]
	v_fmac_f16_e32 v98, v44, v5
	v_mul_f16_sdwa v44, v18, v12 dst_sel:DWORD dst_unused:UNUSED_PAD src0_sel:DWORD src1_sel:WORD_1
	v_mul_f16_sdwa v45, v82, v12 dst_sel:DWORD dst_unused:UNUSED_PAD src0_sel:DWORD src1_sel:WORD_1
	;; [unrolled: 1-line block ×3, first 2 shown]
	v_fmac_f16_e32 v97, v46, v4
	v_fmac_f16_e32 v100, v40, v6
	;; [unrolled: 1-line block ×3, first 2 shown]
	v_fma_f16 v40, v59, v4, -v103
	v_fma_f16 v42, v61, v4, -v99
	;; [unrolled: 1-line block ×8, first 2 shown]
	v_fmac_f16_e32 v106, v26, v4
	v_fmac_f16_e32 v110, v28, v5
	;; [unrolled: 1-line block ×4, first 2 shown]
	v_fma_f16 v4, v72, v0, -v115
	v_fma_f16 v5, v73, v1, -v116
	;; [unrolled: 1-line block ×3, first 2 shown]
	v_fmac_f16_e32 v117, v34, v0
	v_fmac_f16_e32 v118, v36, v1
	;; [unrolled: 1-line block ×10, first 2 shown]
	v_fma_f16 v0, v75, v13, -v122
	v_fma_f16 v1, v76, v14, -v124
	;; [unrolled: 1-line block ×4, first 2 shown]
	v_fmac_f16_e32 v45, v18, v12
	v_fma_f16 v12, v82, v12, -v44
	v_fma_f16 v9, v79, v13, -v9
	;; [unrolled: 1-line block ×4, first 2 shown]
	v_mul_f16_sdwa v114, v58, v3 dst_sel:DWORD dst_unused:UNUSED_PAD src0_sel:DWORD src1_sel:WORD_1
	v_fmac_f16_e32 v113, v58, v3
	v_sub_f16_e32 v26, v45, v121
	v_sub_f16_e32 v27, v89, v123
	;; [unrolled: 1-line block ×10, first 2 shown]
	v_add_f16_e32 v81, v9, v11
	v_add_f16_e32 v82, v7, v13
	v_sub_f16_e32 v94, v9, v7
	v_sub_f16_e32 v99, v11, v13
	v_add_f16_e32 v34, v121, v123
	v_add_f16_e32 v35, v0, v1
	;; [unrolled: 1-line block ×3, first 2 shown]
	v_sub_f16_e32 v37, v121, v45
	v_add_f16_e32 v38, v45, v89
	v_sub_f16_e32 v39, v123, v89
	v_sub_f16_e32 v43, v0, v12
	v_add_f16_e32 v44, v12, v2
	v_sub_f16_e32 v58, v1, v2
	v_sub_f16_e32 v67, v110, v106
	v_sub_f16_e32 v68, v111, v112
	v_add_f16_e32 v70, v40, v61
	v_sub_f16_e32 v104, v98, v97
	v_sub_f16_e32 v105, v100, v102
	;; [unrolled: 1-line block ×4, first 2 shown]
	v_fma_f16 v3, v71, v3, -v114
	v_add_f16_e32 v15, v83, v12
	v_sub_f16_e32 v32, v40, v59
	v_sub_f16_e32 v33, v61, v60
	;; [unrolled: 1-line block ×4, first 2 shown]
	v_add_f16_e32 v91, v85, v7
	v_sub_f16_e32 v101, v97, v98
	v_sub_f16_e32 v103, v102, v100
	v_add_f16_e32 v109, v46, v47
	v_add_f16_e32 v114, v42, v62
	v_sub_f16_e32 v115, v46, v42
	v_sub_f16_e32 v116, v47, v62
	;; [unrolled: 1-line block ×3, first 2 shown]
	v_add_f16_e32 v26, v26, v27
	v_sub_f16_e32 v27, v96, v95
	v_add_f16_e32 v28, v28, v29
	v_add_f16_e32 v29, v92, v95
	;; [unrolled: 1-line block ×5, first 2 shown]
	v_sub_f16_e32 v78, v117, v118
	v_add_f16_e32 v79, v79, v80
	v_sub_f16_e32 v80, v113, v120
	v_fma_f16 v81, -0.5, v81, v85
	v_fmac_f16_e32 v85, -0.5, v82
	v_add_f16_e32 v82, v118, v120
	v_add_f16_e32 v94, v94, v99
	;; [unrolled: 1-line block ×5, first 2 shown]
	v_sub_f16_e32 v72, v93, v8
	v_sub_f16_e32 v73, v41, v10
	v_add_f16_e32 v74, v8, v10
	v_add_f16_e32 v75, v93, v41
	v_fma_f16 v34, -0.5, v34, v57
	v_fmac_f16_e32 v57, -0.5, v38
	v_sub_f16_e32 v38, v92, v90
	v_add_f16_e32 v37, v37, v39
	v_sub_f16_e32 v39, v95, v96
	v_fma_f16 v35, -0.5, v35, v83
	v_fmac_f16_e32 v83, -0.5, v44
	v_sub_f16_e32 v44, v63, v64
	v_add_f16_e32 v43, v43, v58
	v_sub_f16_e32 v58, v66, v65
	v_add_f16_e32 v67, v67, v68
	v_add_f16_e32 v68, v64, v65
	v_fma_f16 v36, -0.5, v36, v84
	v_fmac_f16_e32 v84, -0.5, v70
	v_add_f16_e32 v70, v63, v66
	v_add_f16_e32 v104, v104, v105
	v_sub_f16_e32 v105, v118, v117
	v_add_f16_e32 v107, v107, v108
	v_sub_f16_e32 v108, v120, v113
	v_add_f16_e32 v119, v86, v42
	v_add_f16_e32 v32, v32, v33
	;; [unrolled: 1-line block ×7, first 2 shown]
	v_fma_f16 v109, -0.5, v109, v86
	v_fmac_f16_e32 v86, -0.5, v114
	v_sub_f16_e32 v114, v4, v5
	v_add_f16_e32 v115, v115, v116
	v_sub_f16_e32 v116, v3, v6
	v_add_f16_e32 v27, v122, v27
	v_add_f16_e32 v122, v5, v6
	v_fma_f16 v29, -0.5, v29, v23
	v_fmac_f16_e32 v23, -0.5, v31
	v_add_f16_e32 v31, v4, v3
	v_add_f16_e32 v78, v78, v80
	v_sub_f16_e32 v80, v0, v1
	v_fma_f16 v82, -0.5, v82, v17
	v_fmac_f16_e32 v17, -0.5, v99
	v_add_f16_e32 v99, v24, v106
	v_add_f16_e32 v0, v15, v0
	;; [unrolled: 1-line block ×5, first 2 shown]
	v_sub_f16_e32 v73, v64, v63
	v_fma_f16 v74, -0.5, v74, v25
	v_fmac_f16_e32 v25, -0.5, v75
	v_sub_f16_e32 v75, v65, v66
	v_add_f16_e32 v38, v38, v39
	v_add_f16_e32 v39, v88, v4
	v_add_f16_e32 v44, v44, v58
	v_sub_f16_e32 v58, v5, v4
	v_fma_f16 v68, -0.5, v68, v87
	v_fmac_f16_e32 v87, -0.5, v70
	v_sub_f16_e32 v70, v6, v3
	v_add_f16_e32 v105, v105, v108
	v_add_f16_e32 v108, v110, v111
	v_add_f16_e32 v114, v114, v116
	;; [unrolled: 7-line block ×3, first 2 shown]
	v_sub_f16_e32 v59, v98, v100
	v_add_f16_e32 v15, v15, v98
	v_sub_f16_e32 v98, v64, v65
	v_add_f16_e32 v64, v71, v64
	;; [unrolled: 2-line block ×3, first 2 shown]
	v_add_f16_e32 v73, v73, v75
	v_sub_f16_e32 v75, v121, v123
	v_add_f16_e32 v58, v58, v70
	v_sub_f16_e32 v70, v8, v10
	;; [unrolled: 2-line block ×3, first 2 shown]
	v_add_f16_e32 v8, v76, v8
	v_add_f16_e32 v9, v91, v9
	v_sub_f16_e32 v91, v92, v95
	v_add_f16_e32 v33, v33, v92
	v_sub_f16_e32 v92, v5, v6
	v_sub_f16_e32 v45, v45, v89
	;; [unrolled: 1-line block ×4, first 2 shown]
	v_add_f16_e32 v5, v39, v5
	v_fma_f16 v39, -0.5, v108, v24
	v_sub_f16_e32 v76, v46, v47
	v_add_f16_e32 v46, v119, v46
	v_sub_f16_e32 v119, v118, v120
	v_add_f16_e32 v103, v103, v118
	v_add_f16_e32 v118, v97, v102
	v_fma_f16 v24, -0.5, v106, v24
	v_sub_f16_e32 v93, v93, v41
	v_sub_f16_e32 v7, v7, v13
	;; [unrolled: 1-line block ×4, first 2 shown]
	v_fma_f16 v106, -0.5, v110, v22
	v_add_f16_e32 v0, v0, v1
	v_add_f16_e32 v1, v99, v111
	;; [unrolled: 1-line block ×8, first 2 shown]
	v_fmamk_f16 v6, v12, 0xbb9c, v34
	v_fmamk_f16 v60, v45, 0x3b9c, v35
	;; [unrolled: 1-line block ×4, first 2 shown]
	v_fma_f16 v22, -0.5, v118, v22
	v_add_f16_e32 v14, v14, v123
	v_add_f16_e32 v9, v9, v11
	v_add_f16_e32 v11, v46, v47
	v_fmamk_f16 v47, v80, 0x3b9c, v57
	v_fmamk_f16 v64, v75, 0xbb9c, v83
	;; [unrolled: 1-line block ×4, first 2 shown]
	v_fmac_f16_e32 v57, 0xbb9c, v80
	v_fmac_f16_e32 v83, 0x3b9c, v75
	;; [unrolled: 1-line block ×8, first 2 shown]
	v_sub_f16_e32 v90, v90, v96
	v_sub_f16_e32 v63, v63, v66
	v_add_f16_e32 v46, v103, v120
	v_fmamk_f16 v103, v7, 0xbb9c, v74
	v_fmamk_f16 v110, v93, 0x3b9c, v81
	;; [unrolled: 1-line block ×3, first 2 shown]
	v_add_f16_e32 v0, v0, v2
	v_fmamk_f16 v2, v97, 0x3b9c, v109
	v_fmac_f16_e32 v6, 0xb8b4, v80
	v_fmac_f16_e32 v60, 0x38b4, v75
	;; [unrolled: 1-line block ×4, first 2 shown]
	v_fmamk_f16 v108, v121, 0x3b9c, v25
	v_fmac_f16_e32 v25, 0xbb9c, v121
	v_fmamk_f16 v111, v70, 0xbb9c, v85
	v_add_f16_e32 v14, v14, v89
	v_fmamk_f16 v89, v76, 0x3b9c, v22
	v_add_f16_e32 v1, v1, v112
	v_fmamk_f16 v112, v59, 0xbb9c, v86
	v_fmac_f16_e32 v47, 0xb8b4, v12
	v_fmac_f16_e32 v64, 0x38b4, v45
	;; [unrolled: 1-line block ×11, first 2 shown]
	v_sub_f16_e32 v4, v4, v3
	v_sub_f16_e32 v117, v117, v113
	v_fmac_f16_e32 v34, 0x38b4, v80
	v_fmac_f16_e32 v35, 0xb8b4, v75
	v_fmac_f16_e32 v39, 0x38b4, v31
	v_fmac_f16_e32 v36, 0xb8b4, v116
	v_fmac_f16_e32 v74, 0x3b9c, v7
	v_fmac_f16_e32 v81, 0xbb9c, v93
	v_fmac_f16_e32 v106, 0x3b9c, v42
	v_fmac_f16_e32 v109, 0xbb9c, v97
	v_add_f16_e32 v18, v18, v61
	v_fmamk_f16 v61, v63, 0xbb9c, v29
	v_fmamk_f16 v12, v90, 0x3b9c, v68
	v_fmac_f16_e32 v103, 0xb8b4, v121
	v_fmac_f16_e32 v110, 0x38b4, v70
	;; [unrolled: 1-line block ×8, first 2 shown]
	v_fmamk_f16 v80, v98, 0x3b9c, v23
	v_fmac_f16_e32 v23, 0xbb9c, v98
	v_fmamk_f16 v75, v91, 0xbb9c, v87
	v_fmac_f16_e32 v87, 0x3b9c, v91
	;; [unrolled: 2-line block ×3, first 2 shown]
	v_add_f16_e32 v8, v8, v41
	v_fmac_f16_e32 v108, 0xb8b4, v7
	v_fmac_f16_e32 v25, 0x38b4, v7
	v_add_f16_e32 v7, v9, v13
	v_fmac_f16_e32 v111, 0x38b4, v93
	v_fmac_f16_e32 v89, 0xb8b4, v42
	;; [unrolled: 1-line block ×16, first 2 shown]
	v_fmamk_f16 v45, v4, 0xbb9c, v82
	v_fmamk_f16 v40, v117, 0x3b9c, v122
	v_fmac_f16_e32 v34, 0x34f2, v26
	v_fmac_f16_e32 v35, 0x34f2, v28
	;; [unrolled: 1-line block ×4, first 2 shown]
	v_fmamk_f16 v116, v119, 0xbb9c, v88
	v_fmac_f16_e32 v88, 0x3b9c, v119
	v_fmac_f16_e32 v74, 0x38b4, v121
	;; [unrolled: 1-line block ×3, first 2 shown]
	v_add_f16_e32 v9, v10, v102
	v_fmac_f16_e32 v106, 0x38b4, v76
	v_add_f16_e32 v10, v11, v62
	v_fmac_f16_e32 v109, 0xb8b4, v59
	v_pack_b32_f16 v0, v14, v0
	v_pack_b32_f16 v1, v1, v18
	v_fmac_f16_e32 v82, 0x3b9c, v4
	v_fmac_f16_e32 v122, 0xbb9c, v117
	;; [unrolled: 1-line block ×4, first 2 shown]
	v_add_f16_e32 v3, v5, v3
	v_fmac_f16_e32 v103, 0x34f2, v72
	v_fmac_f16_e32 v110, 0x34f2, v79
	;; [unrolled: 1-line block ×4, first 2 shown]
	v_pack_b32_f16 v5, v6, v60
	v_pack_b32_f16 v6, v65, v99
	v_fmac_f16_e32 v80, 0xb8b4, v63
	v_fmac_f16_e32 v23, 0x38b4, v63
	;; [unrolled: 1-line block ×10, first 2 shown]
	v_pack_b32_f16 v4, v8, v7
	v_pack_b32_f16 v7, v47, v64
	;; [unrolled: 1-line block ×3, first 2 shown]
	v_fmac_f16_e32 v29, 0x38b4, v98
	v_fmac_f16_e32 v68, 0xb8b4, v91
	;; [unrolled: 1-line block ×6, first 2 shown]
	v_pack_b32_f16 v14, v57, v83
	v_pack_b32_f16 v24, v24, v84
	v_fmac_f16_e32 v45, 0xb8b4, v92
	v_fmac_f16_e32 v40, 0x38b4, v119
	v_pack_b32_f16 v18, v34, v35
	v_pack_b32_f16 v26, v39, v36
	v_fmac_f16_e32 v116, 0x38b4, v117
	v_fmac_f16_e32 v88, 0xb8b4, v117
	;; [unrolled: 1-line block ×6, first 2 shown]
	ds_write2_b32 v49, v0, v1 offset1:5
	ds_write2_b32 v49, v5, v6 offset0:10 offset1:15
	ds_write2_b32 v49, v7, v8 offset0:20 offset1:25
	ds_write2_b32 v49, v14, v24 offset0:30 offset1:35
	ds_write2_b32 v49, v18, v26 offset0:40 offset1:45
	v_pack_b32_f16 v6, v9, v10
	v_add_f16_e32 v11, v15, v96
	v_add_f16_e32 v13, v33, v66
	v_fmac_f16_e32 v82, 0x38b4, v92
	v_fmac_f16_e32 v122, 0xb8b4, v119
	;; [unrolled: 1-line block ×4, first 2 shown]
	v_pack_b32_f16 v0, v103, v110
	v_pack_b32_f16 v2, v118, v2
	v_fmac_f16_e32 v80, 0x34f2, v38
	v_fmac_f16_e32 v23, 0x34f2, v38
	;; [unrolled: 1-line block ×4, first 2 shown]
	v_pack_b32_f16 v1, v108, v111
	v_pack_b32_f16 v7, v89, v112
	v_fmac_f16_e32 v29, 0x34f2, v27
	v_fmac_f16_e32 v68, 0x34f2, v44
	v_pack_b32_f16 v5, v25, v85
	v_pack_b32_f16 v8, v22, v86
	v_add_f16_e32 v15, v46, v113
	v_fmac_f16_e32 v45, 0x34f2, v78
	v_fmac_f16_e32 v40, 0x34f2, v114
	v_fmac_f16_e32 v31, 0x34f2, v105
	v_fmac_f16_e32 v17, 0x34f2, v105
	v_fmac_f16_e32 v116, 0x34f2, v58
	v_fmac_f16_e32 v88, 0x34f2, v58
	v_pack_b32_f16 v9, v74, v81
	ds_write2_b32 v49, v4, v6 offset0:50 offset1:55
	ds_write2_b32 v49, v0, v2 offset0:60 offset1:65
	;; [unrolled: 1-line block ×4, first 2 shown]
	v_pack_b32_f16 v0, v106, v109
	v_fmac_f16_e32 v82, 0x34f2, v78
	v_fmac_f16_e32 v122, 0x34f2, v114
	v_add3_u32 v1, 0, v56, v51
	v_pack_b32_f16 v2, v11, v13
	v_pack_b32_f16 v4, v61, v12
	;; [unrolled: 1-line block ×5, first 2 shown]
	v_add3_u32 v8, 0, v55, v51
	v_pack_b32_f16 v3, v15, v3
	v_pack_b32_f16 v10, v45, v40
	ds_write2_b32 v49, v9, v0 offset0:90 offset1:95
	ds_write2_b32 v1, v2, v4 offset0:100 offset1:110
	;; [unrolled: 1-line block ×3, first 2 shown]
	ds_write_b32 v1, v7 offset:560
	ds_write2_b32 v8, v3, v10 offset0:100 offset1:110
	v_pack_b32_f16 v2, v31, v116
	v_pack_b32_f16 v3, v17, v88
	v_lshlrev_b32_e32 v18, 1, v16
	v_pack_b32_f16 v4, v82, v122
	v_lshlrev_b32_e32 v0, 1, v54
	v_mov_b32_e32 v1, v19
	ds_write2_b32 v8, v2, v3 offset0:120 offset1:130
	ds_write_b32 v8, v4 offset:560
	v_add_nc_u32_e32 v2, 20, v18
	v_mov_b32_e32 v3, v19
	v_lshlrev_b64 v[0:1], 2, v[0:1]
	v_add_nc_u32_e32 v4, 30, v18
	v_mov_b32_e32 v5, v19
	v_lshlrev_b32_e32 v6, 1, v52
	v_lshlrev_b64 v[2:3], 2, v[2:3]
	v_mov_b32_e32 v7, v19
	v_add_co_u32 v0, s0, s8, v0
	v_lshlrev_b64 v[4:5], 2, v[4:5]
	v_add_co_ci_u32_e64 v1, s0, s9, v1, s0
	v_add_co_u32 v2, s0, s8, v2
	v_lshlrev_b64 v[6:7], 2, v[6:7]
	v_lshlrev_b32_e32 v8, 1, v53
	v_mov_b32_e32 v9, v19
	v_add_co_ci_u32_e64 v3, s0, s9, v3, s0
	v_add_co_u32 v4, s0, s8, v4
	v_add_co_ci_u32_e64 v5, s0, s9, v5, s0
	v_lshlrev_b64 v[14:15], 2, v[8:9]
	v_add_co_u32 v12, s0, s8, v6
	v_add_nc_u32_e32 v22, 60, v18
	v_mov_b32_e32 v23, v19
	v_add_co_ci_u32_e64 v13, s0, s9, v7, s0
	s_waitcnt lgkmcnt(0)
	s_barrier
	buffer_gl0_inv
	s_clause 0x3
	global_load_dwordx2 v[10:11], v[0:1], off offset:160
	global_load_dwordx2 v[8:9], v[2:3], off offset:160
	;; [unrolled: 1-line block ×4, first 2 shown]
	v_add_nc_u32_e32 v2, 0x46, v18
	v_mov_b32_e32 v3, v19
	v_add_co_u32 v12, s0, s8, v14
	v_lshlrev_b64 v[0:1], 2, v[22:23]
	v_add_co_ci_u32_e64 v13, s0, s9, v15, s0
	v_or_b32_e32 v14, 0x50, v18
	v_mov_b32_e32 v15, v19
	v_lshlrev_b64 v[2:3], 2, v[2:3]
	v_add_co_u32 v0, s0, s8, v0
	v_add_co_ci_u32_e64 v1, s0, s9, v1, s0
	v_lshlrev_b64 v[14:15], 2, v[14:15]
	v_add_co_u32 v2, s0, s8, v2
	v_add_co_ci_u32_e64 v3, s0, s9, v3, s0
	global_load_dwordx2 v[22:23], v[12:13], off offset:160
	v_add_co_u32 v14, s0, s8, v14
	v_lshlrev_b64 v[12:13], 2, v[18:19]
	v_add_nc_u32_e32 v18, 0x5a, v18
	v_add_co_ci_u32_e64 v15, s0, s9, v15, s0
	s_clause 0x2
	global_load_dwordx2 v[28:29], v[0:1], off offset:160
	global_load_dwordx2 v[26:27], v[2:3], off offset:160
	;; [unrolled: 1-line block ×3, first 2 shown]
	v_lshlrev_b64 v[0:1], 2, v[18:19]
	v_add_co_u32 v2, s0, s8, v12
	v_add_co_ci_u32_e64 v3, s0, s9, v13, s0
	v_add_co_u32 v0, s0, s8, v0
	v_add_co_ci_u32_e64 v1, s0, s9, v1, s0
	s_clause 0x1
	global_load_dwordx2 v[30:31], v[2:3], off offset:160
	global_load_dwordx2 v[17:18], v[0:1], off offset:160
	ds_read_b32 v34, v50
	ds_read2_b32 v[35:36], v49 offset0:105 offset1:110
	ds_read2_b32 v[37:38], v49 offset0:55 offset1:60
	;; [unrolled: 1-line block ×11, first 2 shown]
	ds_read_u16 v47, v49 offset:222
	ds_read_b32 v56, v49 offset:580
	ds_read2_b32 v[14:15], v49 offset0:15 offset1:20
	ds_read2_b32 v[12:13], v49 offset0:25 offset1:30
	;; [unrolled: 1-line block ×3, first 2 shown]
	s_waitcnt vmcnt(0) lgkmcnt(0)
	s_barrier
	buffer_gl0_inv
	v_lshrrev_b32_e32 v57, 16, v34
	v_lshrrev_b32_e32 v58, 16, v35
	;; [unrolled: 1-line block ×27, first 2 shown]
	v_mul_f16_sdwa v84, v10, v37 dst_sel:DWORD dst_unused:UNUSED_PAD src0_sel:WORD_1 src1_sel:DWORD
	v_mul_f16_sdwa v86, v47, v10 dst_sel:DWORD dst_unused:UNUSED_PAD src0_sel:DWORD src1_sel:WORD_1
	v_mul_f16_sdwa v92, v39, v6 dst_sel:DWORD dst_unused:UNUSED_PAD src0_sel:DWORD src1_sel:WORD_1
	v_mul_f16_sdwa v94, v61, v6 dst_sel:DWORD dst_unused:UNUSED_PAD src0_sel:DWORD src1_sel:WORD_1
	v_mul_f16_sdwa v85, v35, v11 dst_sel:DWORD dst_unused:UNUSED_PAD src0_sel:DWORD src1_sel:WORD_1
	v_mul_f16_sdwa v87, v58, v11 dst_sel:DWORD dst_unused:UNUSED_PAD src0_sel:DWORD src1_sel:WORD_1
	v_mul_f16_sdwa v93, v41, v7 dst_sel:DWORD dst_unused:UNUSED_PAD src0_sel:DWORD src1_sel:WORD_1
	v_mul_f16_sdwa v95, v62, v7 dst_sel:DWORD dst_unused:UNUSED_PAD src0_sel:DWORD src1_sel:WORD_1
	v_fma_f16 v47, v47, v10, -v84
	v_fmac_f16_e32 v86, v10, v37
	v_fma_f16 v10, v61, v6, -v92
	v_fmac_f16_e32 v94, v39, v6
	;; [unrolled: 2-line block ×4, first 2 shown]
	v_mul_f16_sdwa v88, v59, v8 dst_sel:DWORD dst_unused:UNUSED_PAD src0_sel:DWORD src1_sel:WORD_1
	v_mul_f16_sdwa v89, v60, v9 dst_sel:DWORD dst_unused:UNUSED_PAD src0_sel:DWORD src1_sel:WORD_1
	;; [unrolled: 1-line block ×4, first 2 shown]
	v_add_f16_e32 v39, v86, v87
	v_fmac_f16_e32 v88, v38, v8
	v_fmac_f16_e32 v89, v36, v9
	v_mul_f16_sdwa v100, v43, v22 dst_sel:DWORD dst_unused:UNUSED_PAD src0_sel:DWORD src1_sel:WORD_1
	v_mul_f16_sdwa v102, v65, v22 dst_sel:DWORD dst_unused:UNUSED_PAD src0_sel:DWORD src1_sel:WORD_1
	;; [unrolled: 1-line block ×4, first 2 shown]
	v_fma_f16 v8, v59, v8, -v90
	v_fma_f16 v6, v65, v22, -v100
	v_mul_f16_sdwa v104, v67, v28 dst_sel:DWORD dst_unused:UNUSED_PAD src0_sel:DWORD src1_sel:WORD_1
	v_mul_f16_sdwa v106, v44, v28 dst_sel:DWORD dst_unused:UNUSED_PAD src0_sel:DWORD src1_sel:WORD_1
	;; [unrolled: 1-line block ×8, first 2 shown]
	v_fmac_f16_e32 v102, v43, v22
	v_fmac_f16_e32 v104, v44, v28
	v_fma_f16 v22, v67, v28, -v106
	v_fma_f16 v28, v69, v26, -v108
	v_fmac_f16_e32 v110, v50, v26
	v_fma_f16 v7, v66, v23, -v101
	v_mul_f16_sdwa v116, v30, v75 dst_sel:DWORD dst_unused:UNUSED_PAD src0_sel:WORD_1 src1_sel:DWORD
	v_mul_f16_sdwa v117, v30, v1 dst_sel:DWORD dst_unused:UNUSED_PAD src0_sel:WORD_1 src1_sel:DWORD
	;; [unrolled: 1-line block ×4, first 2 shown]
	v_mul_f16_sdwa v120, v73, v17 dst_sel:DWORD dst_unused:UNUSED_PAD src0_sel:DWORD src1_sel:WORD_1
	v_mul_f16_sdwa v121, v32, v17 dst_sel:DWORD dst_unused:UNUSED_PAD src0_sel:DWORD src1_sel:WORD_1
	;; [unrolled: 1-line block ×4, first 2 shown]
	v_fma_f16 v26, v30, v75, -v117
	v_fmac_f16_e32 v116, v30, v1
	v_fmac_f16_e32 v103, v45, v23
	;; [unrolled: 1-line block ×3, first 2 shown]
	v_fma_f16 v23, v68, v29, -v107
	v_fma_f16 v29, v70, v27, -v109
	v_fmac_f16_e32 v111, v52, v27
	v_fma_f16 v27, v31, v76, -v119
	v_fmac_f16_e32 v118, v31, v33
	v_fmac_f16_e32 v120, v32, v17
	v_fma_f16 v1, v73, v17, -v121
	v_fmac_f16_e32 v122, v56, v18
	v_fma_f16 v17, v74, v18, -v123
	v_add_f16_e32 v18, v34, v116
	v_add_f16_e32 v30, v57, v26
	;; [unrolled: 1-line block ×4, first 2 shown]
	v_sub_f16_e32 v33, v26, v27
	v_add_f16_e32 v26, v26, v27
	v_add_f16_e32 v18, v18, v118
	;; [unrolled: 1-line block ×5, first 2 shown]
	v_mul_f16_sdwa v112, v71, v24 dst_sel:DWORD dst_unused:UNUSED_PAD src0_sel:DWORD src1_sel:WORD_1
	v_mul_f16_sdwa v113, v72, v25 dst_sel:DWORD dst_unused:UNUSED_PAD src0_sel:DWORD src1_sel:WORD_1
	;; [unrolled: 1-line block ×3, first 2 shown]
	v_fma_f16 v9, v60, v9, -v91
	v_add_f16_e32 v74, v110, v111
	v_pack_b32_f16 v18, v18, v27
	v_pack_b32_f16 v27, v30, v31
	v_mul_f16_sdwa v114, v51, v24 dst_sel:DWORD dst_unused:UNUSED_PAD src0_sel:DWORD src1_sel:WORD_1
	v_fmac_f16_e32 v112, v51, v24
	v_fmac_f16_e32 v113, v53, v25
	v_fma_f16 v25, v72, v25, -v115
	v_add_f16_e32 v43, v78, v8
	v_sub_f16_e32 v45, v8, v9
	v_add_f16_e32 v8, v8, v9
	v_add_f16_e32 v46, v14, v94
	;; [unrolled: 1-line block ×3, first 2 shown]
	v_fma_f16 v2, -0.5, v39, v2
	v_fma_f16 v39, -0.5, v74, v54
	ds_write2_b32 v49, v18, v27 offset1:5
	v_sub_f16_e32 v18, v28, v29
	v_add_f16_e32 v27, v83, v28
	v_mul_f16_sdwa v96, v63, v4 dst_sel:DWORD dst_unused:UNUSED_PAD src0_sel:DWORD src1_sel:WORD_1
	v_fma_f16 v24, v71, v24, -v114
	v_sub_f16_e32 v37, v47, v58
	v_add_f16_e32 v38, v47, v58
	v_add_f16_e32 v47, v94, v95
	;; [unrolled: 1-line block ×4, first 2 shown]
	v_fmac_f16_e32 v78, -0.5, v8
	v_add_f16_e32 v8, v46, v95
	v_fmac_f16_e32 v83, -0.5, v72
	v_sub_f16_e32 v28, v110, v111
	v_fmamk_f16 v46, v18, 0xbaee, v39
	v_fmac_f16_e32 v39, 0x3aee, v18
	v_add_f16_e32 v18, v27, v29
	v_add_f16_e32 v29, v112, v113
	v_mul_f16_sdwa v97, v64, v5 dst_sel:DWORD dst_unused:UNUSED_PAD src0_sel:DWORD src1_sel:WORD_1
	v_mul_f16_sdwa v98, v40, v4 dst_sel:DWORD dst_unused:UNUSED_PAD src0_sel:DWORD src1_sel:WORD_1
	;; [unrolled: 1-line block ×3, first 2 shown]
	v_fmac_f16_e32 v96, v40, v4
	v_add_f16_e32 v35, v116, v118
	v_add_f16_e32 v41, v3, v88
	v_sub_f16_e32 v51, v94, v95
	v_sub_f16_e32 v10, v10, v11
	v_add_f16_e32 v11, v50, v11
	v_fmac_f16_e32 v79, -0.5, v52
	v_fma_f16 v14, -0.5, v47, v14
	v_fmamk_f16 v27, v28, 0x3aee, v83
	v_fmac_f16_e32 v83, 0xbaee, v28
	v_lshrrev_b32_e32 v28, 16, v55
	v_add_f16_e32 v47, v24, v25
	v_add_f16_e32 v50, v55, v112
	v_fmac_f16_e32 v55, -0.5, v29
	v_sub_f16_e32 v29, v24, v25
	v_fmac_f16_e32 v97, v42, v5
	v_add_f16_e32 v42, v88, v89
	v_fma_f16 v4, v63, v4, -v98
	v_fma_f16 v5, v64, v5, -v99
	v_sub_f16_e32 v36, v116, v118
	v_sub_f16_e32 v40, v86, v87
	v_add_f16_e32 v53, v15, v96
	v_fmac_f16_e32 v34, -0.5, v35
	v_fmac_f16_e32 v57, -0.5, v26
	;; [unrolled: 1-line block ×3, first 2 shown]
	v_add_f16_e32 v26, v41, v89
	v_fmamk_f16 v41, v10, 0xbaee, v14
	v_fmac_f16_e32 v14, 0x3aee, v10
	v_fmamk_f16 v10, v51, 0x3aee, v79
	v_fmac_f16_e32 v79, 0xbaee, v51
	v_add_f16_e32 v24, v28, v24
	v_fmac_f16_e32 v28, -0.5, v47
	v_sub_f16_e32 v47, v112, v113
	v_fmamk_f16 v51, v29, 0xbaee, v55
	v_fmac_f16_e32 v55, 0x3aee, v29
	v_add_f16_e32 v29, v120, v122
	v_sub_f16_e32 v44, v88, v89
	v_fmac_f16_e32 v3, -0.5, v42
	v_add_f16_e32 v56, v96, v97
	v_add_f16_e32 v60, v80, v4
	;; [unrolled: 1-line block ×8, first 2 shown]
	v_fmamk_f16 v30, v33, 0xbaee, v34
	v_fmac_f16_e32 v34, 0x3aee, v33
	v_fmamk_f16 v31, v36, 0x3aee, v57
	v_fmac_f16_e32 v57, 0xbaee, v36
	v_fmamk_f16 v33, v37, 0xbaee, v2
	v_fmamk_f16 v36, v40, 0x3aee, v77
	v_add_f16_e32 v24, v24, v25
	v_fmamk_f16 v25, v47, 0x3aee, v28
	v_fmac_f16_e32 v28, 0xbaee, v47
	v_lshrrev_b32_e32 v47, 16, v0
	v_add_f16_e32 v53, v0, v120
	v_fmac_f16_e32 v0, -0.5, v29
	v_sub_f16_e32 v29, v1, v17
	v_fmac_f16_e32 v2, 0x3aee, v37
	v_fmac_f16_e32 v77, 0xbaee, v40
	v_add_f16_e32 v9, v43, v9
	v_fmamk_f16 v37, v45, 0xbaee, v3
	v_fmamk_f16 v40, v44, 0x3aee, v78
	v_fmac_f16_e32 v3, 0x3aee, v45
	v_fmac_f16_e32 v78, 0xbaee, v44
	v_sub_f16_e32 v59, v96, v97
	v_sub_f16_e32 v4, v4, v5
	;; [unrolled: 1-line block ×4, first 2 shown]
	v_add_f16_e32 v67, v13, v104
	v_add_f16_e32 v68, v104, v105
	;; [unrolled: 1-line block ×5, first 2 shown]
	v_fmac_f16_e32 v15, -0.5, v56
	v_add_f16_e32 v5, v60, v5
	v_fmac_f16_e32 v80, -0.5, v61
	v_add_f16_e32 v35, v62, v103
	v_add_f16_e32 v7, v65, v7
	v_fmac_f16_e32 v81, -0.5, v66
	v_fma_f16 v12, -0.5, v63, v12
	v_fmamk_f16 v54, v29, 0xbaee, v0
	v_fmac_f16_e32 v0, 0x3aee, v29
	v_pack_b32_f16 v29, v30, v31
	v_pack_b32_f16 v31, v33, v36
	;; [unrolled: 1-line block ×6, first 2 shown]
	v_add_f16_e32 v52, v1, v17
	v_pack_b32_f16 v26, v37, v40
	v_pack_b32_f16 v10, v41, v10
	;; [unrolled: 1-line block ×4, first 2 shown]
	v_sub_f16_e32 v69, v104, v105
	v_sub_f16_e32 v22, v22, v23
	v_add_f16_e32 v38, v67, v105
	v_fmac_f16_e32 v13, -0.5, v68
	v_add_f16_e32 v23, v70, v23
	v_fmac_f16_e32 v82, -0.5, v71
	v_fmamk_f16 v42, v4, 0xbaee, v15
	v_fmac_f16_e32 v15, 0x3aee, v4
	v_fmamk_f16 v4, v59, 0x3aee, v80
	v_fmamk_f16 v43, v6, 0xbaee, v12
	v_fmac_f16_e32 v12, 0x3aee, v6
	v_fmamk_f16 v6, v64, 0x3aee, v81
	v_add_f16_e32 v45, v73, v111
	ds_write2_b32 v49, v29, v31 offset0:50 offset1:55
	ds_write2_b32 v49, v30, v2 offset0:100 offset1:105
	;; [unrolled: 1-line block ×5, first 2 shown]
	v_pack_b32_f16 v2, v32, v5
	v_pack_b32_f16 v3, v35, v7
	v_fmac_f16_e32 v80, 0xbaee, v59
	v_fmac_f16_e32 v81, 0xbaee, v64
	v_add_f16_e32 v1, v47, v1
	v_fmac_f16_e32 v47, -0.5, v52
	v_sub_f16_e32 v52, v120, v122
	v_fmamk_f16 v44, v22, 0xbaee, v13
	v_fmac_f16_e32 v13, 0x3aee, v22
	v_fmamk_f16 v22, v69, 0x3aee, v82
	v_pack_b32_f16 v4, v42, v4
	v_pack_b32_f16 v6, v43, v6
	ds_write2_b32 v49, v2, v3 offset0:20 offset1:25
	v_pack_b32_f16 v2, v38, v23
	v_pack_b32_f16 v3, v45, v18
	v_fmac_f16_e32 v82, 0xbaee, v69
	v_pack_b32_f16 v5, v15, v80
	v_pack_b32_f16 v7, v12, v81
	v_add_f16_e32 v50, v50, v113
	v_add_f16_e32 v53, v53, v122
	;; [unrolled: 1-line block ×3, first 2 shown]
	v_fmamk_f16 v17, v52, 0x3aee, v47
	v_fmac_f16_e32 v47, 0xbaee, v52
	ds_write2_b32 v49, v4, v6 offset0:70 offset1:75
	ds_write2_b32 v49, v5, v7 offset0:120 offset1:125
	v_pack_b32_f16 v4, v44, v22
	ds_write2_b32 v49, v2, v3 offset0:30 offset1:35
	v_pack_b32_f16 v2, v46, v27
	v_pack_b32_f16 v5, v13, v82
	;; [unrolled: 1-line block ×9, first 2 shown]
	ds_write2_b32 v49, v4, v2 offset0:80 offset1:85
	ds_write2_b32 v49, v5, v3 offset0:130 offset1:135
	;; [unrolled: 1-line block ×5, first 2 shown]
	s_waitcnt lgkmcnt(0)
	s_barrier
	buffer_gl0_inv
	s_and_saveexec_b32 s0, vcc_lo
	s_cbranch_execz .LBB0_18
; %bb.17:
	v_lshl_add_u32 v22, v16, 2, v48
	v_add_nc_u32_e32 v18, 5, v16
	v_mov_b32_e32 v17, v19
	v_add_co_u32 v20, vcc_lo, s2, v20
	ds_read2_b32 v[0:1], v22 offset1:5
	v_lshlrev_b64 v[2:3], 2, v[18:19]
	v_add_nc_u32_e32 v18, 10, v16
	v_lshlrev_b64 v[4:5], 2, v[16:17]
	v_add_co_ci_u32_e32 v21, vcc_lo, s3, v21, vcc_lo
	ds_read2_b32 v[6:7], v22 offset0:10 offset1:15
	ds_read2_b32 v[8:9], v22 offset0:20 offset1:25
	v_lshlrev_b64 v[10:11], 2, v[18:19]
	v_add_nc_u32_e32 v18, 15, v16
	v_add_co_u32 v4, vcc_lo, v20, v4
	v_add_co_ci_u32_e32 v5, vcc_lo, v21, v5, vcc_lo
	v_add_co_u32 v2, vcc_lo, v20, v2
	v_lshlrev_b64 v[12:13], 2, v[18:19]
	v_add_nc_u32_e32 v18, 20, v16
	v_add_co_ci_u32_e32 v3, vcc_lo, v21, v3, vcc_lo
	s_waitcnt lgkmcnt(2)
	global_store_dword v[4:5], v0, off
	v_add_co_u32 v4, vcc_lo, v20, v10
	v_add_co_ci_u32_e32 v5, vcc_lo, v21, v11, vcc_lo
	v_lshlrev_b64 v[10:11], 2, v[18:19]
	v_add_nc_u32_e32 v18, 25, v16
	v_add_co_u32 v12, vcc_lo, v20, v12
	v_add_co_ci_u32_e32 v13, vcc_lo, v21, v13, vcc_lo
	v_lshlrev_b64 v[14:15], 2, v[18:19]
	v_add_nc_u32_e32 v18, 30, v16
	v_add_co_u32 v10, vcc_lo, v20, v10
	v_add_co_ci_u32_e32 v11, vcc_lo, v21, v11, vcc_lo
	global_store_dword v[2:3], v1, off
	s_waitcnt lgkmcnt(1)
	global_store_dword v[4:5], v6, off
	global_store_dword v[12:13], v7, off
	s_waitcnt lgkmcnt(0)
	global_store_dword v[10:11], v8, off
	v_lshlrev_b64 v[0:1], 2, v[18:19]
	v_add_nc_u32_e32 v18, 35, v16
	ds_read2_b32 v[4:5], v22 offset0:30 offset1:35
	ds_read2_b32 v[10:11], v22 offset0:40 offset1:45
	v_add_co_u32 v2, vcc_lo, v20, v14
	v_lshlrev_b64 v[6:7], 2, v[18:19]
	v_add_nc_u32_e32 v18, 40, v16
	v_add_co_ci_u32_e32 v3, vcc_lo, v21, v15, vcc_lo
	v_add_co_u32 v0, vcc_lo, v20, v0
	v_lshlrev_b64 v[12:13], 2, v[18:19]
	v_add_nc_u32_e32 v18, 45, v16
	v_add_co_ci_u32_e32 v1, vcc_lo, v21, v1, vcc_lo
	v_add_co_u32 v6, vcc_lo, v20, v6
	v_add_co_ci_u32_e32 v7, vcc_lo, v21, v7, vcc_lo
	v_add_co_u32 v12, vcc_lo, v20, v12
	v_lshlrev_b64 v[14:15], 2, v[18:19]
	v_add_nc_u32_e32 v18, 50, v16
	v_add_co_ci_u32_e32 v13, vcc_lo, v21, v13, vcc_lo
	global_store_dword v[2:3], v9, off
	s_waitcnt lgkmcnt(1)
	global_store_dword v[0:1], v4, off
	global_store_dword v[6:7], v5, off
	s_waitcnt lgkmcnt(0)
	global_store_dword v[12:13], v10, off
	ds_read2_b32 v[4:5], v22 offset0:50 offset1:55
	ds_read2_b32 v[6:7], v22 offset0:60 offset1:65
	v_lshlrev_b64 v[0:1], 2, v[18:19]
	v_add_nc_u32_e32 v18, 55, v16
	v_add_co_u32 v2, vcc_lo, v20, v14
	v_add_co_ci_u32_e32 v3, vcc_lo, v21, v15, vcc_lo
	v_lshlrev_b64 v[8:9], 2, v[18:19]
	v_add_nc_u32_e32 v18, 60, v16
	v_add_co_u32 v0, vcc_lo, v20, v0
	v_add_co_ci_u32_e32 v1, vcc_lo, v21, v1, vcc_lo
	;; [unrolled: 4-line block ×4, first 2 shown]
	global_store_dword v[2:3], v11, off
	s_waitcnt lgkmcnt(1)
	global_store_dword v[0:1], v4, off
	global_store_dword v[8:9], v5, off
	s_waitcnt lgkmcnt(0)
	global_store_dword v[12:13], v6, off
	v_lshlrev_b64 v[0:1], 2, v[18:19]
	v_add_nc_u32_e32 v18, 0x4b, v16
	ds_read2_b32 v[4:5], v22 offset0:70 offset1:75
	ds_read2_b32 v[10:11], v22 offset0:80 offset1:85
	v_add_co_u32 v2, vcc_lo, v20, v14
	v_lshlrev_b64 v[8:9], 2, v[18:19]
	v_add_nc_u32_e32 v18, 0x50, v16
	v_add_co_ci_u32_e32 v3, vcc_lo, v21, v15, vcc_lo
	v_add_co_u32 v0, vcc_lo, v20, v0
	v_lshlrev_b64 v[12:13], 2, v[18:19]
	v_add_nc_u32_e32 v18, 0x55, v16
	v_add_co_ci_u32_e32 v1, vcc_lo, v21, v1, vcc_lo
	v_add_co_u32 v8, vcc_lo, v20, v8
	v_add_co_ci_u32_e32 v9, vcc_lo, v21, v9, vcc_lo
	v_lshlrev_b64 v[14:15], 2, v[18:19]
	v_add_nc_u32_e32 v18, 0x5a, v16
	v_add_co_u32 v12, vcc_lo, v20, v12
	v_add_co_ci_u32_e32 v13, vcc_lo, v21, v13, vcc_lo
	global_store_dword v[2:3], v7, off
	s_waitcnt lgkmcnt(1)
	global_store_dword v[0:1], v4, off
	global_store_dword v[8:9], v5, off
	s_waitcnt lgkmcnt(0)
	global_store_dword v[12:13], v10, off
	v_lshlrev_b64 v[0:1], 2, v[18:19]
	v_add_nc_u32_e32 v18, 0x5f, v16
	ds_read2_b32 v[4:5], v22 offset0:90 offset1:95
	ds_read2_b32 v[8:9], v22 offset0:100 offset1:105
	v_add_co_u32 v2, vcc_lo, v20, v14
	v_lshlrev_b64 v[6:7], 2, v[18:19]
	v_add_nc_u32_e32 v18, 0x64, v16
	v_add_co_ci_u32_e32 v3, vcc_lo, v21, v15, vcc_lo
	v_add_co_u32 v0, vcc_lo, v20, v0
	v_lshlrev_b64 v[12:13], 2, v[18:19]
	v_add_nc_u32_e32 v18, 0x69, v16
	v_add_co_ci_u32_e32 v1, vcc_lo, v21, v1, vcc_lo
	v_add_co_u32 v6, vcc_lo, v20, v6
	v_add_co_ci_u32_e32 v7, vcc_lo, v21, v7, vcc_lo
	v_lshlrev_b64 v[14:15], 2, v[18:19]
	v_add_nc_u32_e32 v18, 0x6e, v16
	v_add_co_u32 v12, vcc_lo, v20, v12
	v_add_co_ci_u32_e32 v13, vcc_lo, v21, v13, vcc_lo
	;; [unrolled: 24-line block ×3, first 2 shown]
	global_store_dword v[2:3], v9, off
	s_waitcnt lgkmcnt(1)
	global_store_dword v[0:1], v4, off
	global_store_dword v[6:7], v5, off
	s_waitcnt lgkmcnt(0)
	global_store_dword v[12:13], v10, off
	v_lshlrev_b64 v[0:1], 2, v[18:19]
	v_add_nc_u32_e32 v18, 0x87, v16
	ds_read2_b32 v[4:5], v22 offset0:130 offset1:135
	ds_read2_b32 v[8:9], v22 offset0:140 offset1:145
	v_add_co_u32 v2, vcc_lo, v20, v14
	v_lshlrev_b64 v[6:7], 2, v[18:19]
	v_add_nc_u32_e32 v18, 0x8c, v16
	v_add_co_ci_u32_e32 v3, vcc_lo, v21, v15, vcc_lo
	v_add_co_u32 v0, vcc_lo, v20, v0
	v_lshlrev_b64 v[12:13], 2, v[18:19]
	v_add_nc_u32_e32 v18, 0x91, v16
	v_add_co_ci_u32_e32 v1, vcc_lo, v21, v1, vcc_lo
	v_add_co_u32 v6, vcc_lo, v20, v6
	v_lshlrev_b64 v[14:15], 2, v[18:19]
	v_add_co_ci_u32_e32 v7, vcc_lo, v21, v7, vcc_lo
	v_add_co_u32 v12, vcc_lo, v20, v12
	v_add_co_ci_u32_e32 v13, vcc_lo, v21, v13, vcc_lo
	v_add_co_u32 v14, vcc_lo, v20, v14
	v_add_co_ci_u32_e32 v15, vcc_lo, v21, v15, vcc_lo
	global_store_dword v[2:3], v11, off
	s_waitcnt lgkmcnt(1)
	global_store_dword v[0:1], v4, off
	global_store_dword v[6:7], v5, off
	s_waitcnt lgkmcnt(0)
	global_store_dword v[12:13], v8, off
	global_store_dword v[14:15], v9, off
.LBB0_18:
	s_endpgm
	.section	.rodata,"a",@progbits
	.p2align	6, 0x0
	.amdhsa_kernel fft_rtc_back_len150_factors_10_5_3_wgs_60_tpt_5_halfLds_half_ip_CI_unitstride_sbrr_C2R_dirReg
		.amdhsa_group_segment_fixed_size 0
		.amdhsa_private_segment_fixed_size 0
		.amdhsa_kernarg_size 88
		.amdhsa_user_sgpr_count 6
		.amdhsa_user_sgpr_private_segment_buffer 1
		.amdhsa_user_sgpr_dispatch_ptr 0
		.amdhsa_user_sgpr_queue_ptr 0
		.amdhsa_user_sgpr_kernarg_segment_ptr 1
		.amdhsa_user_sgpr_dispatch_id 0
		.amdhsa_user_sgpr_flat_scratch_init 0
		.amdhsa_user_sgpr_private_segment_size 0
		.amdhsa_wavefront_size32 1
		.amdhsa_uses_dynamic_stack 0
		.amdhsa_system_sgpr_private_segment_wavefront_offset 0
		.amdhsa_system_sgpr_workgroup_id_x 1
		.amdhsa_system_sgpr_workgroup_id_y 0
		.amdhsa_system_sgpr_workgroup_id_z 0
		.amdhsa_system_sgpr_workgroup_info 0
		.amdhsa_system_vgpr_workitem_id 0
		.amdhsa_next_free_vgpr 125
		.amdhsa_next_free_sgpr 21
		.amdhsa_reserve_vcc 1
		.amdhsa_reserve_flat_scratch 0
		.amdhsa_float_round_mode_32 0
		.amdhsa_float_round_mode_16_64 0
		.amdhsa_float_denorm_mode_32 3
		.amdhsa_float_denorm_mode_16_64 3
		.amdhsa_dx10_clamp 1
		.amdhsa_ieee_mode 1
		.amdhsa_fp16_overflow 0
		.amdhsa_workgroup_processor_mode 1
		.amdhsa_memory_ordered 1
		.amdhsa_forward_progress 0
		.amdhsa_shared_vgpr_count 0
		.amdhsa_exception_fp_ieee_invalid_op 0
		.amdhsa_exception_fp_denorm_src 0
		.amdhsa_exception_fp_ieee_div_zero 0
		.amdhsa_exception_fp_ieee_overflow 0
		.amdhsa_exception_fp_ieee_underflow 0
		.amdhsa_exception_fp_ieee_inexact 0
		.amdhsa_exception_int_div_zero 0
	.end_amdhsa_kernel
	.text
.Lfunc_end0:
	.size	fft_rtc_back_len150_factors_10_5_3_wgs_60_tpt_5_halfLds_half_ip_CI_unitstride_sbrr_C2R_dirReg, .Lfunc_end0-fft_rtc_back_len150_factors_10_5_3_wgs_60_tpt_5_halfLds_half_ip_CI_unitstride_sbrr_C2R_dirReg
                                        ; -- End function
	.section	.AMDGPU.csdata,"",@progbits
; Kernel info:
; codeLenInByte = 14584
; NumSgprs: 23
; NumVgprs: 125
; ScratchSize: 0
; MemoryBound: 0
; FloatMode: 240
; IeeeMode: 1
; LDSByteSize: 0 bytes/workgroup (compile time only)
; SGPRBlocks: 2
; VGPRBlocks: 15
; NumSGPRsForWavesPerEU: 23
; NumVGPRsForWavesPerEU: 125
; Occupancy: 8
; WaveLimiterHint : 1
; COMPUTE_PGM_RSRC2:SCRATCH_EN: 0
; COMPUTE_PGM_RSRC2:USER_SGPR: 6
; COMPUTE_PGM_RSRC2:TRAP_HANDLER: 0
; COMPUTE_PGM_RSRC2:TGID_X_EN: 1
; COMPUTE_PGM_RSRC2:TGID_Y_EN: 0
; COMPUTE_PGM_RSRC2:TGID_Z_EN: 0
; COMPUTE_PGM_RSRC2:TIDIG_COMP_CNT: 0
	.text
	.p2alignl 6, 3214868480
	.fill 48, 4, 3214868480
	.type	__hip_cuid_2092d1ebc3568fc9,@object ; @__hip_cuid_2092d1ebc3568fc9
	.section	.bss,"aw",@nobits
	.globl	__hip_cuid_2092d1ebc3568fc9
__hip_cuid_2092d1ebc3568fc9:
	.byte	0                               ; 0x0
	.size	__hip_cuid_2092d1ebc3568fc9, 1

	.ident	"AMD clang version 19.0.0git (https://github.com/RadeonOpenCompute/llvm-project roc-6.4.0 25133 c7fe45cf4b819c5991fe208aaa96edf142730f1d)"
	.section	".note.GNU-stack","",@progbits
	.addrsig
	.addrsig_sym __hip_cuid_2092d1ebc3568fc9
	.amdgpu_metadata
---
amdhsa.kernels:
  - .args:
      - .actual_access:  read_only
        .address_space:  global
        .offset:         0
        .size:           8
        .value_kind:     global_buffer
      - .offset:         8
        .size:           8
        .value_kind:     by_value
      - .actual_access:  read_only
        .address_space:  global
        .offset:         16
        .size:           8
        .value_kind:     global_buffer
      - .actual_access:  read_only
        .address_space:  global
        .offset:         24
        .size:           8
        .value_kind:     global_buffer
      - .offset:         32
        .size:           8
        .value_kind:     by_value
      - .actual_access:  read_only
        .address_space:  global
        .offset:         40
        .size:           8
        .value_kind:     global_buffer
      - .actual_access:  read_only
        .address_space:  global
        .offset:         48
        .size:           8
        .value_kind:     global_buffer
      - .offset:         56
        .size:           4
        .value_kind:     by_value
      - .actual_access:  read_only
        .address_space:  global
        .offset:         64
        .size:           8
        .value_kind:     global_buffer
      - .actual_access:  read_only
        .address_space:  global
        .offset:         72
        .size:           8
        .value_kind:     global_buffer
      - .address_space:  global
        .offset:         80
        .size:           8
        .value_kind:     global_buffer
    .group_segment_fixed_size: 0
    .kernarg_segment_align: 8
    .kernarg_segment_size: 88
    .language:       OpenCL C
    .language_version:
      - 2
      - 0
    .max_flat_workgroup_size: 60
    .name:           fft_rtc_back_len150_factors_10_5_3_wgs_60_tpt_5_halfLds_half_ip_CI_unitstride_sbrr_C2R_dirReg
    .private_segment_fixed_size: 0
    .sgpr_count:     23
    .sgpr_spill_count: 0
    .symbol:         fft_rtc_back_len150_factors_10_5_3_wgs_60_tpt_5_halfLds_half_ip_CI_unitstride_sbrr_C2R_dirReg.kd
    .uniform_work_group_size: 1
    .uses_dynamic_stack: false
    .vgpr_count:     125
    .vgpr_spill_count: 0
    .wavefront_size: 32
    .workgroup_processor_mode: 1
amdhsa.target:   amdgcn-amd-amdhsa--gfx1030
amdhsa.version:
  - 1
  - 2
...

	.end_amdgpu_metadata
